;; amdgpu-corpus repo=ROCm/rocFFT kind=compiled arch=gfx950 opt=O3
	.text
	.amdgcn_target "amdgcn-amd-amdhsa--gfx950"
	.amdhsa_code_object_version 6
	.protected	fft_rtc_back_len1188_factors_6_11_2_3_3_wgs_198_tpt_66_halfLds_dp_op_CI_CI_sbrr_dirReg ; -- Begin function fft_rtc_back_len1188_factors_6_11_2_3_3_wgs_198_tpt_66_halfLds_dp_op_CI_CI_sbrr_dirReg
	.globl	fft_rtc_back_len1188_factors_6_11_2_3_3_wgs_198_tpt_66_halfLds_dp_op_CI_CI_sbrr_dirReg
	.p2align	8
	.type	fft_rtc_back_len1188_factors_6_11_2_3_3_wgs_198_tpt_66_halfLds_dp_op_CI_CI_sbrr_dirReg,@function
fft_rtc_back_len1188_factors_6_11_2_3_3_wgs_198_tpt_66_halfLds_dp_op_CI_CI_sbrr_dirReg: ; @fft_rtc_back_len1188_factors_6_11_2_3_3_wgs_198_tpt_66_halfLds_dp_op_CI_CI_sbrr_dirReg
; %bb.0:
	s_load_dwordx4 s[12:15], s[0:1], 0x18
	s_load_dwordx4 s[8:11], s[0:1], 0x0
	;; [unrolled: 1-line block ×3, first 2 shown]
	v_mul_u32_u24_e32 v1, 0x3e1, v0
	v_lshrrev_b32_e32 v2, 16, v1
	s_waitcnt lgkmcnt(0)
	s_load_dwordx2 s[18:19], s[12:13], 0x0
	s_load_dwordx2 s[16:17], s[14:15], 0x0
	v_mad_u64_u32 v[2:3], s[2:3], s2, 3, v[2:3]
	v_mov_b32_e32 v6, 0
	v_mov_b32_e32 v3, v6
	v_cmp_lt_u64_e64 s[2:3], s[10:11], 2
	v_mov_b64_e32 v[4:5], 0
	s_and_b64 vcc, exec, s[2:3]
	v_mov_b64_e32 v[114:115], v[4:5]
	v_mov_b64_e32 v[118:119], v[2:3]
	s_cbranch_vccnz .LBB0_8
; %bb.1:
	s_load_dwordx2 s[2:3], s[0:1], 0x10
	s_add_u32 s20, s14, 8
	s_addc_u32 s21, s15, 0
	s_add_u32 s22, s12, 8
	s_addc_u32 s23, s13, 0
	s_waitcnt lgkmcnt(0)
	s_add_u32 s24, s2, 8
	v_mov_b64_e32 v[4:5], 0
	s_addc_u32 s25, s3, 0
	s_mov_b64 s[26:27], 1
	v_mov_b64_e32 v[114:115], v[4:5]
	v_mov_b64_e32 v[8:9], v[2:3]
.LBB0_2:                                ; =>This Inner Loop Header: Depth=1
	s_load_dwordx2 s[28:29], s[24:25], 0x0
                                        ; implicit-def: $vgpr118_vgpr119
	s_waitcnt lgkmcnt(0)
	v_or_b32_e32 v7, s29, v9
	v_cmp_ne_u64_e32 vcc, 0, v[6:7]
	s_and_saveexec_b64 s[2:3], vcc
	s_xor_b64 s[30:31], exec, s[2:3]
	s_cbranch_execz .LBB0_4
; %bb.3:                                ;   in Loop: Header=BB0_2 Depth=1
	v_cvt_f32_u32_e32 v1, s28
	v_cvt_f32_u32_e32 v3, s29
	s_sub_u32 s2, 0, s28
	s_subb_u32 s3, 0, s29
	v_fmac_f32_e32 v1, 0x4f800000, v3
	v_rcp_f32_e32 v1, v1
	s_nop 0
	v_mul_f32_e32 v1, 0x5f7ffffc, v1
	v_mul_f32_e32 v3, 0x2f800000, v1
	v_trunc_f32_e32 v3, v3
	v_fmac_f32_e32 v1, 0xcf800000, v3
	v_cvt_u32_f32_e32 v3, v3
	v_cvt_u32_f32_e32 v1, v1
	v_mul_lo_u32 v7, s2, v3
	v_mul_hi_u32 v10, s2, v1
	v_mul_lo_u32 v11, s3, v1
	v_add_u32_e32 v7, v10, v7
	v_mul_lo_u32 v14, s2, v1
	v_add_u32_e32 v7, v7, v11
	v_mul_hi_u32 v10, v1, v14
	v_mul_hi_u32 v13, v1, v7
	v_mul_lo_u32 v12, v1, v7
	v_mov_b32_e32 v11, v6
	v_lshl_add_u64 v[10:11], v[10:11], 0, v[12:13]
	v_mul_hi_u32 v13, v3, v14
	v_mul_lo_u32 v14, v3, v14
	v_add_co_u32_e32 v10, vcc, v10, v14
	v_mul_hi_u32 v12, v3, v7
	s_nop 0
	v_addc_co_u32_e32 v10, vcc, v11, v13, vcc
	v_mov_b32_e32 v11, v6
	s_nop 0
	v_addc_co_u32_e32 v13, vcc, 0, v12, vcc
	v_mul_lo_u32 v12, v3, v7
	v_lshl_add_u64 v[10:11], v[10:11], 0, v[12:13]
	v_add_co_u32_e32 v1, vcc, v1, v10
	v_mul_hi_u32 v10, s2, v1
	s_nop 0
	v_addc_co_u32_e32 v3, vcc, v3, v11, vcc
	v_mul_lo_u32 v7, s2, v3
	v_add_u32_e32 v7, v10, v7
	v_mul_lo_u32 v10, s3, v1
	v_add_u32_e32 v7, v7, v10
	v_mul_lo_u32 v12, s2, v1
	v_mul_hi_u32 v15, v3, v12
	v_mul_lo_u32 v16, v3, v12
	v_mul_hi_u32 v11, v1, v7
	v_mul_lo_u32 v10, v1, v7
	v_mul_hi_u32 v12, v1, v12
	v_mov_b32_e32 v13, v6
	v_lshl_add_u64 v[10:11], v[12:13], 0, v[10:11]
	v_add_co_u32_e32 v10, vcc, v10, v16
	v_mul_hi_u32 v14, v3, v7
	s_nop 0
	v_addc_co_u32_e32 v10, vcc, v11, v15, vcc
	v_mul_lo_u32 v12, v3, v7
	s_nop 0
	v_addc_co_u32_e32 v13, vcc, 0, v14, vcc
	v_mov_b32_e32 v11, v6
	v_lshl_add_u64 v[10:11], v[10:11], 0, v[12:13]
	v_add_co_u32_e32 v1, vcc, v1, v10
	v_mul_hi_u32 v12, v8, v1
	s_nop 0
	v_addc_co_u32_e32 v3, vcc, v3, v11, vcc
	v_mad_u64_u32 v[10:11], s[2:3], v8, v3, 0
	v_mov_b32_e32 v13, v6
	v_lshl_add_u64 v[10:11], v[12:13], 0, v[10:11]
	v_mad_u64_u32 v[14:15], s[2:3], v9, v1, 0
	v_add_co_u32_e32 v1, vcc, v10, v14
	v_mad_u64_u32 v[12:13], s[2:3], v9, v3, 0
	s_nop 0
	v_addc_co_u32_e32 v10, vcc, v11, v15, vcc
	v_mov_b32_e32 v11, v6
	s_nop 0
	v_addc_co_u32_e32 v13, vcc, 0, v13, vcc
	v_lshl_add_u64 v[10:11], v[10:11], 0, v[12:13]
	v_mul_lo_u32 v1, s29, v10
	v_mul_lo_u32 v3, s28, v11
	v_mad_u64_u32 v[12:13], s[2:3], s28, v10, 0
	v_add3_u32 v1, v13, v3, v1
	v_sub_u32_e32 v3, v9, v1
	v_mov_b32_e32 v7, s29
	v_sub_co_u32_e32 v16, vcc, v8, v12
	v_lshl_add_u64 v[14:15], v[10:11], 0, 1
	s_nop 0
	v_subb_co_u32_e64 v3, s[2:3], v3, v7, vcc
	v_subrev_co_u32_e64 v7, s[2:3], s28, v16
	v_subb_co_u32_e32 v1, vcc, v9, v1, vcc
	s_nop 0
	v_subbrev_co_u32_e64 v3, s[2:3], 0, v3, s[2:3]
	v_cmp_le_u32_e64 s[2:3], s29, v3
	v_cmp_le_u32_e32 vcc, s29, v1
	s_nop 0
	v_cndmask_b32_e64 v12, 0, -1, s[2:3]
	v_cmp_le_u32_e64 s[2:3], s28, v7
	s_nop 1
	v_cndmask_b32_e64 v7, 0, -1, s[2:3]
	v_cmp_eq_u32_e64 s[2:3], s29, v3
	s_nop 1
	v_cndmask_b32_e64 v3, v12, v7, s[2:3]
	v_lshl_add_u64 v[12:13], v[10:11], 0, 2
	v_cmp_ne_u32_e64 s[2:3], 0, v3
	v_cndmask_b32_e64 v7, 0, -1, vcc
	v_cmp_le_u32_e32 vcc, s28, v16
	v_cndmask_b32_e64 v3, v15, v13, s[2:3]
	s_nop 0
	v_cndmask_b32_e64 v13, 0, -1, vcc
	v_cmp_eq_u32_e32 vcc, s29, v1
	s_nop 1
	v_cndmask_b32_e32 v1, v7, v13, vcc
	v_cmp_ne_u32_e32 vcc, 0, v1
	v_cndmask_b32_e64 v1, v14, v12, s[2:3]
	s_nop 0
	v_cndmask_b32_e32 v119, v11, v3, vcc
	v_cndmask_b32_e32 v118, v10, v1, vcc
.LBB0_4:                                ;   in Loop: Header=BB0_2 Depth=1
	s_andn2_saveexec_b64 s[2:3], s[30:31]
	s_cbranch_execz .LBB0_6
; %bb.5:                                ;   in Loop: Header=BB0_2 Depth=1
	v_cvt_f32_u32_e32 v1, s28
	s_sub_i32 s30, 0, s28
	v_mov_b32_e32 v119, v6
	v_rcp_iflag_f32_e32 v1, v1
	s_nop 0
	v_mul_f32_e32 v1, 0x4f7ffffe, v1
	v_cvt_u32_f32_e32 v1, v1
	v_mul_lo_u32 v3, s30, v1
	v_mul_hi_u32 v3, v1, v3
	v_add_u32_e32 v1, v1, v3
	v_mul_hi_u32 v1, v8, v1
	v_mul_lo_u32 v3, v1, s28
	v_sub_u32_e32 v3, v8, v3
	v_add_u32_e32 v7, 1, v1
	v_subrev_u32_e32 v10, s28, v3
	v_cmp_le_u32_e32 vcc, s28, v3
	s_nop 1
	v_cndmask_b32_e32 v3, v3, v10, vcc
	v_cndmask_b32_e32 v1, v1, v7, vcc
	v_add_u32_e32 v7, 1, v1
	v_cmp_le_u32_e32 vcc, s28, v3
	s_nop 1
	v_cndmask_b32_e32 v118, v1, v7, vcc
.LBB0_6:                                ;   in Loop: Header=BB0_2 Depth=1
	s_or_b64 exec, exec, s[2:3]
	v_mad_u64_u32 v[10:11], s[2:3], v118, s28, 0
	s_load_dwordx2 s[2:3], s[22:23], 0x0
	s_add_u32 s26, s26, 1
	v_mul_lo_u32 v1, v119, s28
	v_mul_lo_u32 v3, v118, s29
	s_load_dwordx2 s[28:29], s[20:21], 0x0
	s_addc_u32 s27, s27, 0
	v_add3_u32 v1, v11, v3, v1
	v_sub_co_u32_e32 v3, vcc, v8, v10
	s_add_u32 s20, s20, 8
	s_nop 0
	v_subb_co_u32_e32 v1, vcc, v9, v1, vcc
	s_addc_u32 s21, s21, 0
	s_waitcnt lgkmcnt(0)
	v_mul_lo_u32 v7, s2, v1
	v_mul_lo_u32 v8, s3, v3
	v_mad_u64_u32 v[4:5], s[2:3], s2, v3, v[4:5]
	s_add_u32 s22, s22, 8
	v_add3_u32 v5, v8, v5, v7
	s_addc_u32 s23, s23, 0
	v_mov_b64_e32 v[8:9], s[10:11]
	v_mul_lo_u32 v1, s28, v1
	v_mul_lo_u32 v7, s29, v3
	v_mad_u64_u32 v[114:115], s[2:3], s28, v3, v[114:115]
	s_add_u32 s24, s24, 8
	v_cmp_ge_u64_e32 vcc, s[26:27], v[8:9]
	v_add3_u32 v115, v7, v115, v1
	s_addc_u32 s25, s25, 0
	s_cbranch_vccnz .LBB0_8
; %bb.7:                                ;   in Loop: Header=BB0_2 Depth=1
	v_mov_b64_e32 v[8:9], v[118:119]
	s_branch .LBB0_2
.LBB0_8:
	s_load_dwordx2 s[0:1], s[0:1], 0x28
	s_lshl_b64 s[10:11], s[10:11], 3
	s_add_u32 s2, s14, s10
	s_addc_u32 s3, s15, s11
                                        ; implicit-def: $vgpr116
                                        ; implicit-def: $vgpr131
                                        ; implicit-def: $vgpr129
	s_waitcnt lgkmcnt(0)
	v_cmp_gt_u64_e32 vcc, s[0:1], v[118:119]
	v_cmp_le_u64_e64 s[0:1], s[0:1], v[118:119]
	s_and_saveexec_b64 s[14:15], s[0:1]
	s_xor_b64 s[0:1], exec, s[14:15]
; %bb.9:
	s_mov_b32 s14, 0x3e0f83f
	v_mul_hi_u32 v1, v0, s14
	v_mul_u32_u24_e32 v1, 0x42, v1
	v_sub_u32_e32 v116, v0, v1
	v_add_u32_e32 v131, 0x42, v116
	v_add_u32_e32 v129, 0x84, v116
                                        ; implicit-def: $vgpr0
                                        ; implicit-def: $vgpr4_vgpr5
; %bb.10:
	s_or_saveexec_b64 s[0:1], s[0:1]
                                        ; implicit-def: $vgpr64_vgpr65
                                        ; implicit-def: $vgpr76_vgpr77
                                        ; implicit-def: $vgpr68_vgpr69
                                        ; implicit-def: $vgpr72_vgpr73
                                        ; implicit-def: $vgpr60_vgpr61
                                        ; implicit-def: $vgpr56_vgpr57
                                        ; implicit-def: $vgpr80_vgpr81
                                        ; implicit-def: $vgpr92_vgpr93
                                        ; implicit-def: $vgpr84_vgpr85
                                        ; implicit-def: $vgpr88_vgpr89
                                        ; implicit-def: $vgpr52_vgpr53
                                        ; implicit-def: $vgpr48_vgpr49
                                        ; implicit-def: $vgpr26_vgpr27
                                        ; implicit-def: $vgpr30_vgpr31
                                        ; implicit-def: $vgpr18_vgpr19
                                        ; implicit-def: $vgpr128
                                        ; implicit-def: $vgpr22_vgpr23
                                        ; implicit-def: $vgpr14_vgpr15
                                        ; implicit-def: $vgpr10_vgpr11
	s_xor_b64 exec, exec, s[0:1]
	s_cbranch_execz .LBB0_12
; %bb.11:
	s_add_u32 s10, s12, s10
	s_addc_u32 s11, s13, s11
	s_load_dwordx2 s[10:11], s[10:11], 0x0
	s_mov_b32 s12, 0x3e0f83f
	s_waitcnt lgkmcnt(0)
	v_mul_lo_u32 v1, s11, v118
	v_mul_lo_u32 v3, s10, v119
	v_mad_u64_u32 v[6:7], s[10:11], s10, v118, 0
	v_add3_u32 v7, v7, v3, v1
	v_mul_hi_u32 v1, v0, s12
	v_mul_u32_u24_e32 v1, 0x42, v1
	v_sub_u32_e32 v116, v0, v1
	v_mad_u64_u32 v[8:9], s[10:11], s18, v116, 0
	v_mov_b32_e32 v0, v9
	v_mad_u64_u32 v[0:1], s[10:11], s19, v116, v[0:1]
	v_mov_b32_e32 v9, v0
	v_lshl_add_u64 v[0:1], v[6:7], 4, s[4:5]
	v_add_u32_e32 v3, 0xc6, v116
	v_lshl_add_u64 v[0:1], v[4:5], 4, v[0:1]
	v_mad_u64_u32 v[6:7], s[4:5], s18, v3, 0
	v_lshl_add_u64 v[4:5], v[8:9], 4, v[0:1]
	v_mov_b32_e32 v8, v7
	v_mad_u64_u32 v[8:9], s[4:5], s19, v3, v[8:9]
	v_mov_b32_e32 v7, v8
	v_add_u32_e32 v3, 0x18c, v116
	v_lshl_add_u64 v[6:7], v[6:7], 4, v[0:1]
	global_load_dwordx4 v[8:11], v[4:5], off
	global_load_dwordx4 v[12:15], v[6:7], off
	v_mad_u64_u32 v[4:5], s[4:5], s18, v3, 0
	v_mov_b32_e32 v6, v5
	v_mad_u64_u32 v[6:7], s[4:5], s19, v3, v[6:7]
	v_add_u32_e32 v3, 0x252, v116
	v_mov_b32_e32 v5, v6
	v_mad_u64_u32 v[6:7], s[4:5], s18, v3, 0
	v_mov_b32_e32 v16, v7
	v_mad_u64_u32 v[16:17], s[4:5], s19, v3, v[16:17]
	v_lshl_add_u64 v[4:5], v[4:5], 4, v[0:1]
	v_mov_b32_e32 v7, v16
	v_add_u32_e32 v3, 0x318, v116
	v_lshl_add_u64 v[6:7], v[6:7], 4, v[0:1]
	global_load_dwordx4 v[20:23], v[4:5], off
	global_load_dwordx4 v[16:19], v[6:7], off
	v_mad_u64_u32 v[4:5], s[4:5], s18, v3, 0
	v_mov_b32_e32 v6, v5
	v_mad_u64_u32 v[6:7], s[4:5], s19, v3, v[6:7]
	v_add_u32_e32 v3, 0x3de, v116
	v_mov_b32_e32 v5, v6
	v_mad_u64_u32 v[6:7], s[4:5], s18, v3, 0
	v_mov_b32_e32 v24, v7
	v_mad_u64_u32 v[24:25], s[4:5], s19, v3, v[24:25]
	v_lshl_add_u64 v[4:5], v[4:5], 4, v[0:1]
	v_mov_b32_e32 v7, v24
	v_add_u32_e32 v131, 0x42, v116
	v_lshl_add_u64 v[6:7], v[6:7], 4, v[0:1]
	global_load_dwordx4 v[28:31], v[4:5], off
	global_load_dwordx4 v[24:27], v[6:7], off
	v_mad_u64_u32 v[4:5], s[4:5], s18, v131, 0
	v_mov_b32_e32 v6, v5
	v_mad_u64_u32 v[6:7], s[4:5], s19, v131, v[6:7]
	v_add_u32_e32 v3, 0x108, v116
	v_mov_b32_e32 v5, v6
	v_mad_u64_u32 v[6:7], s[4:5], s18, v3, 0
	v_mov_b32_e32 v32, v7
	v_mad_u64_u32 v[32:33], s[4:5], s19, v3, v[32:33]
	v_add_u32_e32 v3, 0x1ce, v116
	v_mov_b32_e32 v7, v32
	;; [unrolled: 5-line block ×8, first 2 shown]
	v_mad_u64_u32 v[44:45], s[4:5], s18, v3, 0
	v_mov_b32_e32 v46, v45
	v_mad_u64_u32 v[46:47], s[4:5], s19, v3, v[46:47]
	v_add_u32_e32 v3, 0x2d6, v116
	v_mad_u64_u32 v[54:55], s[4:5], s18, v3, 0
	v_mov_b32_e32 v45, v46
	v_mov_b32_e32 v46, v55
	v_mad_u64_u32 v[46:47], s[4:5], s19, v3, v[46:47]
	v_add_u32_e32 v3, 0x39c, v116
	v_mad_u64_u32 v[56:57], s[4:5], s18, v3, 0
	v_mov_b32_e32 v55, v46
	;; [unrolled: 5-line block ×3, first 2 shown]
	v_mov_b32_e32 v46, v59
	v_lshl_add_u64 v[4:5], v[4:5], 4, v[0:1]
	v_mad_u64_u32 v[46:47], s[4:5], s19, v3, v[46:47]
	v_lshl_add_u64 v[6:7], v[6:7], 4, v[0:1]
	v_mov_b32_e32 v59, v46
	global_load_dwordx4 v[46:49], v[4:5], off
	global_load_dwordx4 v[50:53], v[6:7], off
	v_lshl_add_u64 v[4:5], v[32:33], 4, v[0:1]
	v_lshl_add_u64 v[6:7], v[34:35], 4, v[0:1]
	;; [unrolled: 1-line block ×10, first 2 shown]
	global_load_dwordx4 v[86:89], v[4:5], off
	global_load_dwordx4 v[82:85], v[6:7], off
	;; [unrolled: 1-line block ×10, first 2 shown]
	v_mov_b32_e32 v128, v116
.LBB0_12:
	s_or_b64 exec, exec, s[0:1]
	s_mov_b32 s0, 0xaaaaaaab
	v_mul_hi_u32 v0, v2, s0
	v_lshrrev_b32_e32 v0, 1, v0
	v_lshl_add_u32 v0, v0, 1, v0
	v_sub_u32_e32 v0, v2, v0
	v_mul_u32_u24_e32 v42, 0x4a4, v0
	s_waitcnt vmcnt(15)
	v_add_f64 v[0:1], v[20:21], v[8:9]
	s_waitcnt vmcnt(13)
	v_add_f64 v[6:7], v[28:29], v[0:1]
	v_add_f64 v[0:1], v[28:29], v[20:21]
	v_fmac_f64_e32 v[8:9], -0.5, v[0:1]
	v_add_f64 v[0:1], v[16:17], v[12:13]
	s_waitcnt vmcnt(12)
	v_add_f64 v[32:33], v[24:25], v[0:1]
	v_add_f64 v[0:1], v[24:25], v[16:17]
	s_mov_b32 s10, 0xe8584caa
	v_fmac_f64_e32 v[12:13], -0.5, v[0:1]
	v_add_f64 v[0:1], v[26:27], v[18:19]
	s_mov_b32 s11, 0xbfebb67a
	s_mov_b32 s5, 0x3febb67a
	;; [unrolled: 1-line block ×3, first 2 shown]
	v_fma_f64 v[0:1], -0.5, v[0:1], v[14:15]
	v_add_f64 v[24:25], v[16:17], -v[24:25]
	v_add_f64 v[34:35], v[18:19], -v[26:27]
	v_fma_f64 v[16:17], s[4:5], v[24:25], v[0:1]
	v_fma_f64 v[120:121], s[10:11], v[34:35], v[12:13]
	v_mul_f64 v[36:37], v[16:17], s[10:11]
	v_add_f64 v[38:39], v[22:23], -v[30:31]
	v_lshlrev_b32_e32 v133, 3, v42
	v_fmac_f64_e32 v[0:1], s[10:11], v[24:25]
	v_fmac_f64_e32 v[36:37], 0.5, v[120:121]
	v_fma_f64 v[40:41], s[10:11], v[38:39], v[8:9]
	v_mul_u32_u24_e32 v42, 6, v116
	v_add_u32_e32 v94, 0, v133
	v_fmac_f64_e32 v[12:13], s[4:5], v[34:35]
	v_mul_f64 v[24:25], v[0:1], s[10:11]
	v_add_f64 v[2:3], v[32:33], v[6:7]
	v_add_f64 v[4:5], v[40:41], v[36:37]
	v_lshl_add_u32 v134, v42, 3, v94
	v_fmac_f64_e32 v[8:9], s[4:5], v[38:39]
	v_fmac_f64_e32 v[24:25], -0.5, v[12:13]
	ds_write_b128 v134, v[2:5]
	v_add_f64 v[4:5], v[6:7], -v[32:33]
	v_add_f64 v[2:3], v[8:9], v[24:25]
	ds_write_b128 v134, v[2:5] offset:16
	v_add_f64 v[2:3], v[40:41], -v[36:37]
	v_add_f64 v[4:5], v[8:9], -v[24:25]
	s_waitcnt vmcnt(7)
	v_add_f64 v[8:9], v[90:91], v[86:87]
	ds_write_b128 v134, v[2:5] offset:32
	v_add_f64 v[2:3], v[82:83], v[50:51]
	v_add_f64 v[6:7], v[86:87], v[46:47]
	v_fmac_f64_e32 v[46:47], -0.5, v[8:9]
	s_waitcnt vmcnt(6)
	v_add_f64 v[8:9], v[78:79], v[2:3]
	v_add_f64 v[2:3], v[78:79], v[82:83]
	v_fmac_f64_e32 v[50:51], -0.5, v[2:3]
	v_add_f64 v[2:3], v[80:81], v[84:85]
	v_fma_f64 v[24:25], -0.5, v[2:3], v[52:53]
	v_add_f64 v[34:35], v[82:83], -v[78:79]
	v_add_f64 v[32:33], v[84:85], -v[80:81]
	v_fma_f64 v[78:79], s[4:5], v[34:35], v[24:25]
	v_fma_f64 v[122:123], s[10:11], v[32:33], v[50:51]
	v_mul_f64 v[36:37], v[78:79], s[10:11]
	v_add_f64 v[38:39], v[88:89], -v[92:93]
	v_add_f64 v[6:7], v[90:91], v[6:7]
	v_fmac_f64_e32 v[36:37], 0.5, v[122:123]
	v_fma_f64 v[40:41], s[10:11], v[38:39], v[46:47]
	v_mul_i32_i24_e32 v42, 6, v131
	v_fmac_f64_e32 v[24:25], s[10:11], v[34:35]
	v_add_f64 v[2:3], v[8:9], v[6:7]
	v_add_f64 v[4:5], v[40:41], v[36:37]
	v_lshl_add_u32 v135, v42, 3, v94
	v_fmac_f64_e32 v[50:51], s[4:5], v[32:33]
	v_mul_f64 v[32:33], v[24:25], s[10:11]
	ds_write_b128 v135, v[2:5]
	v_fmac_f64_e32 v[46:47], s[4:5], v[38:39]
	v_fmac_f64_e32 v[32:33], -0.5, v[50:51]
	v_add_f64 v[4:5], v[6:7], -v[8:9]
	s_waitcnt vmcnt(1)
	v_add_f64 v[8:9], v[74:75], v[70:71]
	v_add_f64 v[2:3], v[46:47], v[32:33]
	;; [unrolled: 1-line block ×3, first 2 shown]
	v_fmac_f64_e32 v[54:55], -0.5, v[8:9]
	v_add_f64 v[8:9], v[72:73], -v[76:77]
	s_waitcnt vmcnt(0)
	v_add_f64 v[34:35], v[62:63], v[66:67]
	ds_write_b128 v135, v[2:5] offset:16
	v_add_f64 v[4:5], v[46:47], -v[32:33]
	v_fma_f64 v[32:33], s[10:11], v[8:9], v[54:55]
	v_fmac_f64_e32 v[54:55], s[4:5], v[8:9]
	v_add_f64 v[8:9], v[66:67], v[58:59]
	v_fmac_f64_e32 v[58:59], -0.5, v[34:35]
	v_add_f64 v[34:35], v[68:69], -v[64:65]
	v_fma_f64 v[126:127], s[10:11], v[34:35], v[58:59]
	v_fmac_f64_e32 v[58:59], s[4:5], v[34:35]
	v_add_f64 v[34:35], v[64:65], v[68:69]
	v_fma_f64 v[124:125], -0.5, v[34:35], v[60:61]
	v_add_f64 v[34:35], v[66:67], -v[62:63]
	v_fma_f64 v[66:67], s[4:5], v[34:35], v[124:125]
	v_fmac_f64_e32 v[124:125], s[10:11], v[34:35]
	v_add_f64 v[2:3], v[40:41], -v[36:37]
	v_mul_f64 v[34:35], v[66:67], s[10:11]
	v_mul_f64 v[36:37], v[124:125], s[10:11]
	v_fmac_f64_e32 v[34:35], 0.5, v[126:127]
	v_fmac_f64_e32 v[36:37], -0.5, v[58:59]
	ds_write_b128 v135, v[2:5] offset:32
	v_mul_i32_i24_e32 v2, 6, v129
	v_add_f64 v[6:7], v[74:75], v[6:7]
	v_add_f64 v[8:9], v[62:63], v[8:9]
	;; [unrolled: 1-line block ×4, first 2 shown]
	v_add_f64 v[32:33], v[32:33], -v[34:35]
	v_add_f64 v[34:35], v[54:55], -v[36:37]
	v_lshl_add_u32 v54, v2, 3, v94
	v_lshlrev_b32_e32 v2, 3, v116
	v_add_f64 v[44:45], v[8:9], v[6:7]
	v_add_u32_e32 v132, v94, v2
	v_add3_u32 v130, 0, v2, v133
	v_add_f64 v[42:43], v[6:7], -v[8:9]
	s_load_dwordx2 s[2:3], s[2:3], 0x0
	ds_write_b128 v54, v[44:47]
	ds_write_b128 v54, v[40:43] offset:16
	ds_write_b128 v54, v[32:35] offset:32
	s_waitcnt lgkmcnt(0)
	s_barrier
	v_add_u32_e32 v55, 0x800, v130
	v_add_u32_e32 v136, 0x1000, v130
	;; [unrolled: 1-line block ×4, first 2 shown]
	ds_read_b64 v[82:83], v132
	ds_read2_b64 v[110:113], v130 offset0:108 offset1:216
	ds_read2_b64 v[106:109], v55 offset0:68 offset1:176
	;; [unrolled: 1-line block ×5, first 2 shown]
	v_cmp_gt_u32_e64 s[0:1], 42, v116
	v_lshlrev_b32_e32 v117, 3, v131
                                        ; implicit-def: $vgpr8_vgpr9
                                        ; implicit-def: $vgpr38_vgpr39
	s_and_saveexec_b64 s[12:13], s[0:1]
	s_cbranch_execz .LBB0_14
; %bb.13:
	v_add3_u32 v2, 0, v117, v133
	ds_read_b64 v[4:5], v2
	v_add_u32_e32 v2, 0x400, v130
	ds_read2_b64 v[44:47], v2 offset0:46 offset1:154
	ds_read2_b64 v[40:43], v55 offset0:134 offset1:242
	;; [unrolled: 1-line block ×3, first 2 shown]
	v_add_u32_e32 v2, 0x1800, v130
	ds_read2_b64 v[36:39], v2 offset0:54 offset1:162
	v_add_u32_e32 v2, 0x2000, v130
	ds_read2_b64 v[6:9], v2 offset0:14 offset1:122
.LBB0_14:
	s_or_b64 exec, exec, s[12:13]
	v_add_f64 v[2:3], v[22:23], v[10:11]
	v_add_f64 v[22:23], v[30:31], v[22:23]
	;; [unrolled: 1-line block ×4, first 2 shown]
	v_fmac_f64_e32 v[10:11], -0.5, v[22:23]
	v_add_f64 v[20:21], v[20:21], -v[28:29]
	v_add_f64 v[14:15], v[26:27], v[14:15]
	v_mul_f64 v[0:1], v[0:1], -0.5
	v_fma_f64 v[22:23], s[4:5], v[20:21], v[10:11]
	v_fmac_f64_e32 v[10:11], s[10:11], v[20:21]
	v_add_f64 v[18:19], v[14:15], v[2:3]
	v_fmac_f64_e32 v[0:1], s[4:5], v[12:13]
	v_add_f64 v[142:143], v[2:3], -v[14:15]
	v_add_f64 v[2:3], v[92:93], v[88:89]
	v_mul_f64 v[26:27], v[120:121], s[4:5]
	v_add_f64 v[140:141], v[10:11], v[0:1]
	v_add_f64 v[146:147], v[10:11], -v[0:1]
	v_add_f64 v[0:1], v[88:89], v[48:49]
	v_fmac_f64_e32 v[48:49], -0.5, v[2:3]
	v_add_f64 v[2:3], v[86:87], -v[90:91]
	v_fmac_f64_e32 v[26:27], 0.5, v[16:17]
	v_fma_f64 v[14:15], s[4:5], v[2:3], v[48:49]
	v_fmac_f64_e32 v[48:49], s[10:11], v[2:3]
	v_add_f64 v[2:3], v[84:85], v[52:53]
	v_mul_f64 v[16:17], v[122:123], s[4:5]
	v_add_f64 v[0:1], v[92:93], v[0:1]
	v_add_f64 v[2:3], v[80:81], v[2:3]
	v_fmac_f64_e32 v[16:17], 0.5, v[78:79]
	v_add_f64 v[20:21], v[22:23], v[26:27]
	v_add_f64 v[144:145], v[22:23], -v[26:27]
	v_add_f64 v[10:11], v[2:3], v[0:1]
	v_add_f64 v[12:13], v[14:15], v[16:17]
	v_mul_f64 v[22:23], v[24:25], -0.5
	v_add_f64 v[52:53], v[0:1], -v[2:3]
	v_add_f64 v[0:1], v[14:15], -v[16:17]
	v_add_f64 v[16:17], v[76:77], v[72:73]
	v_fmac_f64_e32 v[22:23], s[4:5], v[50:51]
	v_add_f64 v[14:15], v[72:73], v[56:57]
	v_fmac_f64_e32 v[56:57], -0.5, v[16:17]
	v_add_f64 v[16:17], v[70:71], -v[74:75]
	v_add_f64 v[50:51], v[48:49], v[22:23]
	v_add_f64 v[2:3], v[48:49], -v[22:23]
	v_fma_f64 v[30:31], s[4:5], v[16:17], v[56:57]
	v_fmac_f64_e32 v[56:57], s[10:11], v[16:17]
	v_add_f64 v[16:17], v[68:69], v[60:61]
	v_mul_f64 v[48:49], v[126:127], s[4:5]
	v_mul_f64 v[60:61], v[124:125], -0.5
	v_add_f64 v[14:15], v[76:77], v[14:15]
	v_add_f64 v[16:17], v[64:65], v[16:17]
	v_fmac_f64_e32 v[48:49], 0.5, v[66:67]
	v_fmac_f64_e32 v[60:61], s[4:5], v[58:59]
	v_add_f64 v[22:23], v[16:17], v[14:15]
	v_add_f64 v[24:25], v[30:31], v[48:49]
	;; [unrolled: 1-line block ×3, first 2 shown]
	v_add_f64 v[28:29], v[14:15], -v[16:17]
	v_add_f64 v[14:15], v[30:31], -v[48:49]
	;; [unrolled: 1-line block ×3, first 2 shown]
	s_waitcnt lgkmcnt(0)
	s_barrier
	ds_write_b128 v134, v[18:21]
	ds_write_b128 v134, v[140:143] offset:16
	ds_write_b128 v134, v[144:147] offset:32
	ds_write_b128 v135, v[10:13]
	ds_write_b128 v135, v[50:53] offset:16
	ds_write_b128 v135, v[0:3] offset:32
	;; [unrolled: 3-line block ×3, first 2 shown]
	s_waitcnt lgkmcnt(0)
	s_barrier
	ds_read_b64 v[0:1], v132
	ds_read2_b64 v[64:67], v130 offset0:108 offset1:216
	ds_read2_b64 v[60:63], v55 offset0:68 offset1:176
	;; [unrolled: 1-line block ×5, first 2 shown]
                                        ; implicit-def: $vgpr12_vgpr13
                                        ; implicit-def: $vgpr20_vgpr21
	s_and_saveexec_b64 s[4:5], s[0:1]
	s_cbranch_execz .LBB0_16
; %bb.15:
	v_add_u32_e32 v10, 0x400, v130
	ds_read2_b64 v[22:25], v10 offset0:46 offset1:154
	v_add_u32_e32 v10, 0x800, v130
	ds_read2_b64 v[26:29], v10 offset0:134 offset1:242
	;; [unrolled: 2-line block ×3, first 2 shown]
	v_add_u32_e32 v10, 0x1800, v130
	v_add3_u32 v2, 0, v117, v133
	ds_read2_b64 v[18:21], v10 offset0:54 offset1:162
	v_add_u32_e32 v10, 0x2000, v130
	ds_read_b64 v[2:3], v2
	ds_read2_b64 v[10:13], v10 offset0:14 offset1:122
.LBB0_16:
	s_or_b64 exec, exec, s[4:5]
	s_movk_i32 s4, 0xab
	v_mul_lo_u16_sdwa v30, v116, s4 dst_sel:DWORD dst_unused:UNUSED_PAD src0_sel:BYTE_0 src1_sel:DWORD
	v_lshrrev_b16_e32 v120, 10, v30
	v_mul_lo_u16_e32 v30, 6, v120
	v_sub_u16_e32 v121, v116, v30
	v_mov_b32_e32 v122, 10
	v_mul_u32_u24_sdwa v30, v121, v122 dst_sel:DWORD dst_unused:UNUSED_PAD src0_sel:BYTE_0 src1_sel:DWORD
	v_lshlrev_b32_e32 v123, 4, v30
	global_load_dwordx4 v[72:75], v123, s[8:9] offset:48
	global_load_dwordx4 v[84:87], v123, s[8:9] offset:32
	;; [unrolled: 1-line block ×3, first 2 shown]
	global_load_dwordx4 v[68:71], v123, s[8:9]
	s_mov_b32 s10, 0x8eee2c13
	s_mov_b32 s14, 0x43842ef
	;; [unrolled: 1-line block ×25, first 2 shown]
	s_movk_i32 s33, 0x210
	s_waitcnt vmcnt(0)
	v_mul_f64 v[30:31], v[110:111], v[70:71]
	s_waitcnt lgkmcnt(4)
	v_fma_f64 v[78:79], v[64:65], v[68:69], -v[30:31]
	v_mul_f64 v[30:31], v[112:113], v[90:91]
	v_mul_f64 v[76:77], v[64:65], v[70:71]
	v_fma_f64 v[70:71], v[66:67], v[88:89], -v[30:31]
	v_mul_f64 v[30:31], v[106:107], v[86:87]
	v_fmac_f64_e32 v[76:77], v[110:111], v[68:69]
	v_mul_f64 v[68:69], v[66:67], v[90:91]
	s_waitcnt lgkmcnt(3)
	v_mul_f64 v[64:65], v[60:61], v[86:87]
	v_fma_f64 v[66:67], v[60:61], v[84:85], -v[30:31]
	v_mul_f64 v[30:31], v[62:63], v[74:75]
	v_mul_f64 v[60:61], v[108:109], v[74:75]
	v_fmac_f64_e32 v[64:65], v[106:107], v[84:85]
	v_fmac_f64_e32 v[30:31], v[108:109], v[72:73]
	v_fma_f64 v[60:61], v[62:63], v[72:73], -v[60:61]
	global_load_dwordx4 v[90:93], v123, s[8:9] offset:112
	global_load_dwordx4 v[84:87], v123, s[8:9] offset:96
	;; [unrolled: 1-line block ×4, first 2 shown]
	v_fmac_f64_e32 v[68:69], v[112:113], v[88:89]
	s_waitcnt vmcnt(3) lgkmcnt(1)
	v_mul_f64 v[88:89], v[54:55], v[92:93]
	s_waitcnt vmcnt(2)
	v_mul_f64 v[80:81], v[52:53], v[86:87]
	v_fmac_f64_e32 v[80:81], v[98:99], v[84:85]
	s_waitcnt vmcnt(0)
	v_mul_f64 v[62:63], v[56:57], v[74:75]
	v_mul_f64 v[74:75], v[102:103], v[74:75]
	v_fma_f64 v[56:57], v[56:57], v[72:73], -v[74:75]
	v_mul_f64 v[74:75], v[104:105], v[108:109]
	v_fmac_f64_e32 v[62:63], v[102:103], v[72:73]
	v_mul_f64 v[72:73], v[58:59], v[108:109]
	v_fma_f64 v[58:59], v[58:59], v[106:107], -v[74:75]
	v_mul_f64 v[74:75], v[98:99], v[86:87]
	v_fma_f64 v[84:85], v[52:53], v[84:85], -v[74:75]
	v_mul_f64 v[52:53], v[100:101], v[92:93]
	v_fmac_f64_e32 v[88:89], v[100:101], v[90:91]
	v_fma_f64 v[92:93], v[54:55], v[90:91], -v[52:53]
	global_load_dwordx4 v[52:55], v123, s[8:9] offset:144
	global_load_dwordx4 v[100:103], v123, s[8:9] offset:128
	v_fmac_f64_e32 v[72:73], v[104:105], v[106:107]
	s_waitcnt vmcnt(0) lgkmcnt(0)
	v_mul_f64 v[98:99], v[48:49], v[102:103]
	v_mul_f64 v[74:75], v[94:95], v[102:103]
	v_fmac_f64_e32 v[98:99], v[94:95], v[100:101]
	v_fma_f64 v[100:101], v[48:49], v[100:101], -v[74:75]
	v_mul_f64 v[102:103], v[50:51], v[54:55]
	v_mul_f64 v[48:49], v[96:97], v[54:55]
	v_fmac_f64_e32 v[102:103], v[96:97], v[52:53]
	v_fma_f64 v[96:97], v[50:51], v[52:53], -v[48:49]
	v_mul_lo_u16_sdwa v48, v131, s4 dst_sel:DWORD dst_unused:UNUSED_PAD src0_sel:BYTE_0 src1_sel:DWORD
	v_lshrrev_b16_e32 v112, 10, v48
	v_mul_lo_u16_e32 v48, 6, v112
	v_sub_u16_e32 v113, v131, v48
	v_mul_u32_u24_sdwa v48, v113, v122 dst_sel:DWORD dst_unused:UNUSED_PAD src0_sel:BYTE_0 src1_sel:DWORD
	v_lshlrev_b32_e32 v126, 4, v48
	global_load_dwordx4 v[104:107], v126, s[8:9] offset:48
	global_load_dwordx4 v[108:111], v126, s[8:9] offset:32
	global_load_dwordx4 v[50:53], v126, s[8:9] offset:16
	global_load_dwordx4 v[122:125], v126, s[8:9]
	s_mov_b32 s4, 0xf8bb580b
	s_mov_b32 s5, 0xbfe14ced
	;; [unrolled: 1-line block ×3, first 2 shown]
	s_waitcnt vmcnt(1)
	v_mul_f64 v[48:49], v[24:25], v[52:53]
	s_waitcnt vmcnt(0)
	v_mul_f64 v[90:91], v[22:23], v[124:125]
	v_fmac_f64_e32 v[90:91], v[44:45], v[122:123]
	v_mul_f64 v[44:45], v[44:45], v[124:125]
	v_fma_f64 v[94:95], v[22:23], v[122:123], -v[44:45]
	v_mul_f64 v[22:23], v[46:47], v[52:53]
	v_fma_f64 v[52:53], v[24:25], v[50:51], -v[22:23]
	v_mul_f64 v[44:45], v[26:27], v[110:111]
	v_mul_f64 v[22:23], v[40:41], v[110:111]
	v_fmac_f64_e32 v[48:49], v[46:47], v[50:51]
	v_fmac_f64_e32 v[44:45], v[40:41], v[108:109]
	v_fma_f64 v[46:47], v[26:27], v[108:109], -v[22:23]
	v_mul_f64 v[40:41], v[28:29], v[106:107]
	v_mul_f64 v[22:23], v[42:43], v[106:107]
	v_fmac_f64_e32 v[40:41], v[42:43], v[104:105]
	v_fma_f64 v[42:43], v[28:29], v[104:105], -v[22:23]
	global_load_dwordx4 v[22:25], v126, s[8:9] offset:112
	global_load_dwordx4 v[26:29], v126, s[8:9] offset:96
	;; [unrolled: 1-line block ×4, first 2 shown]
	s_waitcnt vmcnt(3)
	v_mul_f64 v[86:87], v[20:21], v[24:25]
	s_waitcnt vmcnt(2)
	v_mul_f64 v[74:75], v[18:19], v[28:29]
	;; [unrolled: 2-line block ×4, first 2 shown]
	v_fmac_f64_e32 v[50:51], v[32:33], v[108:109]
	v_mul_f64 v[32:33], v[32:33], v[110:111]
	v_fma_f64 v[32:33], v[14:15], v[108:109], -v[32:33]
	v_mul_f64 v[14:15], v[34:35], v[106:107]
	v_fmac_f64_e32 v[54:55], v[34:35], v[104:105]
	v_fma_f64 v[34:35], v[16:17], v[104:105], -v[14:15]
	v_mul_f64 v[14:15], v[36:37], v[28:29]
	v_fmac_f64_e32 v[74:75], v[36:37], v[26:27]
	;; [unrolled: 3-line block ×3, first 2 shown]
	v_fma_f64 v[38:39], v[20:21], v[22:23], -v[14:15]
	global_load_dwordx4 v[14:17], v126, s[8:9] offset:144
	global_load_dwordx4 v[18:21], v126, s[8:9] offset:128
	s_barrier
	s_waitcnt vmcnt(1)
	v_mul_f64 v[108:109], v[12:13], v[16:17]
	s_waitcnt vmcnt(0)
	v_mul_f64 v[104:105], v[10:11], v[20:21]
	v_fmac_f64_e32 v[104:105], v[6:7], v[18:19]
	v_mul_f64 v[6:7], v[6:7], v[20:21]
	v_fma_f64 v[106:107], v[10:11], v[18:19], -v[6:7]
	v_mul_f64 v[6:7], v[8:9], v[16:17]
	v_fma_f64 v[110:111], v[12:13], v[14:15], -v[6:7]
	v_add_f64 v[6:7], v[82:83], v[76:77]
	v_add_f64 v[6:7], v[6:7], v[68:69]
	;; [unrolled: 1-line block ×9, first 2 shown]
	v_add_f64 v[10:11], v[78:79], -v[96:97]
	v_fmac_f64_e32 v[108:109], v[8:9], v[14:15]
	v_add_f64 v[8:9], v[6:7], v[102:103]
	v_add_f64 v[6:7], v[76:77], v[102:103]
	v_mul_f64 v[12:13], v[10:11], s[4:5]
	v_mul_f64 v[16:17], v[10:11], s[10:11]
	;; [unrolled: 1-line block ×5, first 2 shown]
	v_fma_f64 v[14:15], s[12:13], v[6:7], v[12:13]
	v_fma_f64 v[12:13], v[6:7], s[12:13], -v[12:13]
	v_fma_f64 v[18:19], s[18:19], v[6:7], v[16:17]
	v_fma_f64 v[16:17], v[6:7], s[18:19], -v[16:17]
	;; [unrolled: 2-line block ×5, first 2 shown]
	v_add_f64 v[14:15], v[82:83], v[14:15]
	v_add_f64 v[12:13], v[82:83], v[12:13]
	;; [unrolled: 1-line block ×10, first 2 shown]
	v_add_f64 v[82:83], v[70:71], -v[100:101]
	v_add_f64 v[10:11], v[68:69], v[98:99]
	v_mul_f64 v[122:123], v[82:83], s[10:11]
	v_fma_f64 v[124:125], s[18:19], v[10:11], v[122:123]
	v_fma_f64 v[122:123], v[10:11], s[18:19], -v[122:123]
	v_add_f64 v[12:13], v[122:123], v[12:13]
	v_mul_f64 v[122:123], v[82:83], s[22:23]
	v_add_f64 v[14:15], v[124:125], v[14:15]
	v_fma_f64 v[124:125], s[24:25], v[10:11], v[122:123]
	v_fma_f64 v[122:123], v[10:11], s[24:25], -v[122:123]
	v_add_f64 v[16:17], v[122:123], v[16:17]
	v_mul_f64 v[122:123], v[82:83], s[34:35]
	v_add_f64 v[18:19], v[124:125], v[18:19]
	v_fma_f64 v[124:125], s[28:29], v[10:11], v[122:123]
	v_fma_f64 v[122:123], v[10:11], s[28:29], -v[122:123]
	v_add_f64 v[20:21], v[122:123], v[20:21]
	v_mul_f64 v[122:123], v[82:83], s[30:31]
	v_add_f64 v[22:23], v[124:125], v[22:23]
	v_fma_f64 v[124:125], s[20:21], v[10:11], v[122:123]
	v_fma_f64 v[122:123], v[10:11], s[20:21], -v[122:123]
	v_mul_f64 v[82:83], v[82:83], s[36:37]
	v_add_f64 v[24:25], v[122:123], v[24:25]
	v_fma_f64 v[122:123], s[12:13], v[10:11], v[82:83]
	v_fma_f64 v[10:11], v[10:11], s[12:13], -v[82:83]
	v_add_f64 v[82:83], v[66:67], -v[92:93]
	v_add_f64 v[28:29], v[122:123], v[28:29]
	v_add_f64 v[6:7], v[10:11], v[6:7]
	v_add_f64 v[10:11], v[64:65], v[88:89]
	v_mul_f64 v[122:123], v[82:83], s[14:15]
	v_add_f64 v[26:27], v[124:125], v[26:27]
	v_fma_f64 v[124:125], s[20:21], v[10:11], v[122:123]
	v_fma_f64 v[122:123], v[10:11], s[20:21], -v[122:123]
	v_add_f64 v[12:13], v[122:123], v[12:13]
	v_mul_f64 v[122:123], v[82:83], s[34:35]
	v_add_f64 v[14:15], v[124:125], v[14:15]
	v_fma_f64 v[124:125], s[28:29], v[10:11], v[122:123]
	v_fma_f64 v[122:123], v[10:11], s[28:29], -v[122:123]
	v_add_f64 v[16:17], v[122:123], v[16:17]
	v_mul_f64 v[122:123], v[82:83], s[38:39]
	v_add_f64 v[18:19], v[124:125], v[18:19]
	v_fma_f64 v[124:125], s[18:19], v[10:11], v[122:123]
	v_fma_f64 v[122:123], v[10:11], s[18:19], -v[122:123]
	v_add_f64 v[20:21], v[122:123], v[20:21]
	v_mul_f64 v[122:123], v[82:83], s[4:5]
	v_add_f64 v[22:23], v[124:125], v[22:23]
	v_fma_f64 v[124:125], s[12:13], v[10:11], v[122:123]
	v_fma_f64 v[122:123], v[10:11], s[12:13], -v[122:123]
	v_mul_f64 v[82:83], v[82:83], s[22:23]
	v_add_f64 v[24:25], v[122:123], v[24:25]
	v_fma_f64 v[122:123], s[24:25], v[10:11], v[82:83]
	v_fma_f64 v[10:11], v[10:11], s[24:25], -v[82:83]
	v_add_f64 v[82:83], v[60:61], -v[84:85]
	v_add_f64 v[28:29], v[122:123], v[28:29]
	v_add_f64 v[6:7], v[10:11], v[6:7]
	v_add_f64 v[10:11], v[30:31], v[80:81]
	v_mul_f64 v[122:123], v[82:83], s[22:23]
	v_add_f64 v[26:27], v[124:125], v[26:27]
	;; [unrolled: 27-line block ×3, first 2 shown]
	v_fma_f64 v[124:125], s[28:29], v[10:11], v[122:123]
	v_fma_f64 v[122:123], v[10:11], s[28:29], -v[122:123]
	v_add_f64 v[12:13], v[122:123], v[12:13]
	v_mul_f64 v[122:123], v[82:83], s[36:37]
	v_add_f64 v[14:15], v[124:125], v[14:15]
	v_fma_f64 v[124:125], s[12:13], v[10:11], v[122:123]
	v_fma_f64 v[122:123], v[10:11], s[12:13], -v[122:123]
	v_add_f64 v[16:17], v[122:123], v[16:17]
	v_mul_f64 v[122:123], v[82:83], s[22:23]
	v_add_f64 v[18:19], v[124:125], v[18:19]
	;; [unrolled: 5-line block ×3, first 2 shown]
	v_fma_f64 v[124:125], s[18:19], v[10:11], v[122:123]
	v_fma_f64 v[122:123], v[10:11], s[18:19], -v[122:123]
	v_mul_f64 v[82:83], v[82:83], s[14:15]
	v_add_f64 v[24:25], v[122:123], v[24:25]
	v_fma_f64 v[122:123], s[20:21], v[10:11], v[82:83]
	v_fma_f64 v[10:11], v[10:11], s[20:21], -v[82:83]
	v_add_f64 v[10:11], v[10:11], v[6:7]
	v_mov_b32_e32 v6, 3
	v_mad_u32_u24 v7, v120, s33, 0
	v_lshlrev_b32_sdwa v82, v6, v121 dst_sel:DWORD dst_unused:UNUSED_PAD src0_sel:DWORD src1_sel:BYTE_0
	v_add3_u32 v82, v7, v82, v133
	v_add_f64 v[26:27], v[124:125], v[26:27]
	v_add_f64 v[28:29], v[122:123], v[28:29]
	ds_write2_b64 v82, v[8:9], v[14:15] offset1:6
	ds_write2_b64 v82, v[18:19], v[22:23] offset0:12 offset1:18
	ds_write2_b64 v82, v[26:27], v[28:29] offset0:24 offset1:30
	ds_write2_b64 v82, v[10:11], v[24:25] offset0:36 offset1:42
	ds_write2_b64 v82, v[20:21], v[16:17] offset0:48 offset1:54
	ds_write_b64 v82, v[12:13] offset:480
	s_and_saveexec_b64 s[40:41], s[0:1]
	s_cbranch_execz .LBB0_18
; %bb.17:
	v_add_f64 v[138:139], v[94:95], -v[110:111]
	v_add_f64 v[124:125], v[52:53], -v[106:107]
	v_add_f64 v[136:137], v[90:91], v[108:109]
	v_mul_f64 v[140:141], v[138:139], s[26:27]
	v_add_f64 v[26:27], v[46:47], -v[38:39]
	v_add_f64 v[122:123], v[48:49], v[104:105]
	v_mul_f64 v[126:127], v[124:125], s[36:37]
	v_fma_f64 v[142:143], v[136:137], s[28:29], -v[140:141]
	v_add_f64 v[18:19], v[42:43], -v[36:37]
	v_add_f64 v[24:25], v[44:45], v[86:87]
	v_mul_f64 v[28:29], v[26:27], s[22:23]
	v_fma_f64 v[134:135], v[122:123], s[12:13], -v[126:127]
	v_add_f64 v[142:143], v[4:5], v[142:143]
	v_add_f64 v[10:11], v[32:33], -v[34:35]
	v_add_f64 v[16:17], v[40:41], v[74:75]
	v_mul_f64 v[20:21], v[18:19], s[38:39]
	v_fma_f64 v[120:121], v[24:25], s[24:25], -v[28:29]
	v_add_f64 v[134:135], v[134:135], v[142:143]
	v_add_f64 v[8:9], v[50:51], v[54:55]
	v_mul_f64 v[12:13], v[10:11], s[14:15]
	v_fma_f64 v[22:23], v[16:17], s[18:19], -v[20:21]
	v_add_f64 v[120:121], v[120:121], v[134:135]
	v_fma_f64 v[14:15], v[8:9], s[20:21], -v[12:13]
	v_add_f64 v[22:23], v[22:23], v[120:121]
	v_fmac_f64_e32 v[140:141], s[28:29], v[136:137]
	v_add_f64 v[14:15], v[14:15], v[22:23]
	v_fmac_f64_e32 v[126:127], s[12:13], v[122:123]
	v_add_f64 v[22:23], v[4:5], v[140:141]
	v_mul_f64 v[144:145], v[138:139], s[22:23]
	v_fmac_f64_e32 v[28:29], s[24:25], v[24:25]
	v_add_f64 v[22:23], v[126:127], v[22:23]
	v_mul_f64 v[140:141], v[124:125], s[30:31]
	v_fma_f64 v[146:147], v[136:137], s[24:25], -v[144:145]
	v_fmac_f64_e32 v[20:21], s[18:19], v[16:17]
	v_add_f64 v[22:23], v[28:29], v[22:23]
	v_mul_f64 v[126:127], v[26:27], s[4:5]
	v_fma_f64 v[142:143], v[122:123], s[20:21], -v[140:141]
	v_add_f64 v[146:147], v[4:5], v[146:147]
	v_fmac_f64_e32 v[12:13], s[20:21], v[8:9]
	v_add_f64 v[20:21], v[20:21], v[22:23]
	v_mul_f64 v[28:29], v[18:19], s[26:27]
	v_fma_f64 v[134:135], v[24:25], s[12:13], -v[126:127]
	v_add_f64 v[142:143], v[142:143], v[146:147]
	v_add_f64 v[12:13], v[12:13], v[20:21]
	v_mul_f64 v[20:21], v[10:11], s[38:39]
	v_fma_f64 v[120:121], v[16:17], s[28:29], -v[28:29]
	v_add_f64 v[134:135], v[134:135], v[142:143]
	v_fma_f64 v[22:23], v[8:9], s[18:19], -v[20:21]
	v_add_f64 v[120:121], v[120:121], v[134:135]
	v_fmac_f64_e32 v[144:145], s[24:25], v[136:137]
	v_add_f64 v[22:23], v[22:23], v[120:121]
	v_fmac_f64_e32 v[140:141], s[20:21], v[122:123]
	v_add_f64 v[120:121], v[4:5], v[144:145]
	v_mul_f64 v[148:149], v[138:139], s[14:15]
	v_fmac_f64_e32 v[126:127], s[12:13], v[24:25]
	v_add_f64 v[120:121], v[140:141], v[120:121]
	v_mul_f64 v[144:145], v[124:125], s[34:35]
	v_fma_f64 v[150:151], v[136:137], s[20:21], -v[148:149]
	v_fmac_f64_e32 v[28:29], s[28:29], v[16:17]
	v_add_f64 v[120:121], v[126:127], v[120:121]
	v_mul_f64 v[140:141], v[26:27], s[38:39]
	v_fma_f64 v[146:147], v[122:123], s[28:29], -v[144:145]
	v_add_f64 v[150:151], v[4:5], v[150:151]
	v_fmac_f64_e32 v[20:21], s[18:19], v[8:9]
	;; [unrolled: 25-line block ×3, first 2 shown]
	v_add_f64 v[126:127], v[126:127], v[134:135]
	v_mul_f64 v[140:141], v[18:19], s[30:31]
	v_fma_f64 v[146:147], v[24:25], s[28:29], -v[144:145]
	v_add_f64 v[150:151], v[150:151], v[154:155]
	v_add_f64 v[28:29], v[28:29], v[126:127]
	v_mul_f64 v[126:127], v[10:11], s[36:37]
	v_fma_f64 v[142:143], v[16:17], s[20:21], -v[140:141]
	v_add_f64 v[146:147], v[146:147], v[150:151]
	v_fma_f64 v[134:135], v[8:9], s[12:13], -v[126:127]
	v_add_f64 v[142:143], v[142:143], v[146:147]
	v_fmac_f64_e32 v[152:153], s[18:19], v[136:137]
	v_add_f64 v[134:135], v[134:135], v[142:143]
	v_fmac_f64_e32 v[148:149], s[24:25], v[122:123]
	;; [unrolled: 2-line block ×4, first 2 shown]
	v_add_f64 v[142:143], v[144:145], v[142:143]
	v_mul_f64 v[138:139], v[138:139], s[4:5]
	v_fmac_f64_e32 v[126:127], s[12:13], v[8:9]
	v_add_f64 v[140:141], v[140:141], v[142:143]
	v_mul_f64 v[10:11], v[10:11], s[26:27]
	v_fma_f64 v[148:149], v[136:137], s[12:13], -v[138:139]
	v_fmac_f64_e32 v[138:139], s[12:13], v[136:137]
	v_add_f64 v[126:127], v[126:127], v[140:141]
	v_fma_f64 v[140:141], v[8:9], s[28:29], -v[10:11]
	v_add_f64 v[148:149], v[4:5], v[148:149]
	v_fmac_f64_e32 v[10:11], s[28:29], v[8:9]
	v_add_f64 v[8:9], v[4:5], v[138:139]
	v_add_f64 v[4:5], v[4:5], v[90:91]
	;; [unrolled: 1-line block ×5, first 2 shown]
	v_mul_f64 v[124:125], v[124:125], s[10:11]
	v_add_f64 v[4:5], v[4:5], v[50:51]
	v_mul_f64 v[26:27], v[26:27], s[14:15]
	v_fma_f64 v[146:147], v[122:123], s[18:19], -v[124:125]
	v_fmac_f64_e32 v[124:125], s[18:19], v[122:123]
	v_add_f64 v[4:5], v[4:5], v[54:55]
	v_mul_f64 v[18:19], v[18:19], s[22:23]
	v_fma_f64 v[144:145], v[24:25], s[20:21], -v[26:27]
	v_fmac_f64_e32 v[26:27], s[20:21], v[24:25]
	v_add_f64 v[8:9], v[124:125], v[8:9]
	v_add_f64 v[4:5], v[4:5], v[74:75]
	v_fma_f64 v[142:143], v[16:17], s[24:25], -v[18:19]
	v_add_f64 v[146:147], v[146:147], v[148:149]
	v_fmac_f64_e32 v[18:19], s[24:25], v[16:17]
	v_add_f64 v[8:9], v[26:27], v[8:9]
	v_add_f64 v[4:5], v[4:5], v[86:87]
	;; [unrolled: 1-line block ×5, first 2 shown]
	v_mad_u32_u24 v7, v112, s33, 0
	v_lshlrev_b32_sdwa v6, v6, v113 dst_sel:DWORD dst_unused:UNUSED_PAD src0_sel:DWORD src1_sel:BYTE_0
	v_add_f64 v[142:143], v[142:143], v[144:145]
	v_add_f64 v[8:9], v[10:11], v[8:9]
	;; [unrolled: 1-line block ×3, first 2 shown]
	v_add3_u32 v6, v7, v6, v133
	v_add_f64 v[140:141], v[140:141], v[142:143]
	ds_write2_b64 v6, v[4:5], v[8:9] offset1:6
	ds_write2_b64 v6, v[126:127], v[28:29] offset0:12 offset1:18
	ds_write2_b64 v6, v[20:21], v[12:13] offset0:24 offset1:30
	;; [unrolled: 1-line block ×4, first 2 shown]
	ds_write_b64 v6, v[140:141] offset:480
.LBB0_18:
	s_or_b64 exec, exec, s[40:41]
	v_add_f64 v[4:5], v[0:1], v[78:79]
	v_add_f64 v[4:5], v[4:5], v[70:71]
	;; [unrolled: 1-line block ×11, first 2 shown]
	v_add_f64 v[6:7], v[76:77], -v[102:103]
	v_mul_f64 v[8:9], v[4:5], s[12:13]
	v_mul_f64 v[12:13], v[4:5], s[18:19]
	;; [unrolled: 1-line block ×4, first 2 shown]
	s_mov_b32 s41, 0x3fe82f19
	s_mov_b32 s40, s22
	v_mul_f64 v[4:5], v[4:5], s[28:29]
	v_fma_f64 v[10:11], s[36:37], v[6:7], v[8:9]
	v_fmac_f64_e32 v[8:9], s[4:5], v[6:7]
	v_fma_f64 v[14:15], s[38:39], v[6:7], v[12:13]
	v_fmac_f64_e32 v[12:13], s[10:11], v[6:7]
	;; [unrolled: 2-line block ×5, first 2 shown]
	v_add_f64 v[10:11], v[0:1], v[10:11]
	v_add_f64 v[8:9], v[0:1], v[8:9]
	;; [unrolled: 1-line block ×11, first 2 shown]
	v_add_f64 v[6:7], v[68:69], -v[98:99]
	v_mul_f64 v[26:27], v[4:5], s[18:19]
	v_fma_f64 v[28:29], s[38:39], v[6:7], v[26:27]
	v_fmac_f64_e32 v[26:27], s[10:11], v[6:7]
	v_add_f64 v[8:9], v[26:27], v[8:9]
	v_mul_f64 v[26:27], v[4:5], s[24:25]
	v_add_f64 v[10:11], v[28:29], v[10:11]
	v_fma_f64 v[28:29], s[40:41], v[6:7], v[26:27]
	v_fmac_f64_e32 v[26:27], s[22:23], v[6:7]
	v_add_f64 v[12:13], v[26:27], v[12:13]
	v_mul_f64 v[26:27], v[4:5], s[28:29]
	v_add_f64 v[14:15], v[28:29], v[14:15]
	v_fma_f64 v[28:29], s[26:27], v[6:7], v[26:27]
	v_fmac_f64_e32 v[26:27], s[34:35], v[6:7]
	v_add_f64 v[16:17], v[26:27], v[16:17]
	v_mul_f64 v[26:27], v[4:5], s[20:21]
	v_add_f64 v[18:19], v[28:29], v[18:19]
	v_fma_f64 v[28:29], s[14:15], v[6:7], v[26:27]
	v_fmac_f64_e32 v[26:27], s[30:31], v[6:7]
	v_mul_f64 v[4:5], v[4:5], s[12:13]
	v_add_f64 v[20:21], v[26:27], v[20:21]
	v_fma_f64 v[26:27], s[4:5], v[6:7], v[4:5]
	v_fmac_f64_e32 v[4:5], s[36:37], v[6:7]
	v_add_f64 v[0:1], v[4:5], v[0:1]
	v_add_f64 v[4:5], v[66:67], v[92:93]
	v_add_f64 v[24:25], v[26:27], v[24:25]
	v_add_f64 v[6:7], v[64:65], -v[88:89]
	v_mul_f64 v[26:27], v[4:5], s[20:21]
	v_add_f64 v[22:23], v[28:29], v[22:23]
	v_fma_f64 v[28:29], s[30:31], v[6:7], v[26:27]
	v_fmac_f64_e32 v[26:27], s[14:15], v[6:7]
	v_add_f64 v[8:9], v[26:27], v[8:9]
	v_mul_f64 v[26:27], v[4:5], s[28:29]
	v_add_f64 v[10:11], v[28:29], v[10:11]
	v_fma_f64 v[28:29], s[26:27], v[6:7], v[26:27]
	v_fmac_f64_e32 v[26:27], s[34:35], v[6:7]
	v_add_f64 v[12:13], v[26:27], v[12:13]
	v_mul_f64 v[26:27], v[4:5], s[18:19]
	v_add_f64 v[14:15], v[28:29], v[14:15]
	v_fma_f64 v[28:29], s[10:11], v[6:7], v[26:27]
	v_fmac_f64_e32 v[26:27], s[38:39], v[6:7]
	v_add_f64 v[16:17], v[26:27], v[16:17]
	v_mul_f64 v[26:27], v[4:5], s[12:13]
	v_add_f64 v[18:19], v[28:29], v[18:19]
	v_fma_f64 v[28:29], s[36:37], v[6:7], v[26:27]
	v_fmac_f64_e32 v[26:27], s[4:5], v[6:7]
	v_mul_f64 v[4:5], v[4:5], s[24:25]
	v_add_f64 v[20:21], v[26:27], v[20:21]
	v_fma_f64 v[26:27], s[40:41], v[6:7], v[4:5]
	v_fmac_f64_e32 v[4:5], s[22:23], v[6:7]
	v_add_f64 v[0:1], v[4:5], v[0:1]
	v_add_f64 v[4:5], v[60:61], v[84:85]
	v_add_f64 v[24:25], v[26:27], v[24:25]
	v_add_f64 v[6:7], v[30:31], -v[80:81]
	v_mul_f64 v[26:27], v[4:5], s[24:25]
	v_add_f64 v[22:23], v[28:29], v[22:23]
	;; [unrolled: 27-line block ×3, first 2 shown]
	v_fma_f64 v[28:29], s[34:35], v[6:7], v[26:27]
	v_fmac_f64_e32 v[26:27], s[26:27], v[6:7]
	v_add_f64 v[76:77], v[26:27], v[8:9]
	v_mul_f64 v[8:9], v[4:5], s[12:13]
	v_add_f64 v[72:73], v[28:29], v[10:11]
	v_fma_f64 v[10:11], s[4:5], v[6:7], v[8:9]
	v_fmac_f64_e32 v[8:9], s[36:37], v[6:7]
	v_add_f64 v[80:81], v[8:9], v[12:13]
	v_mul_f64 v[8:9], v[4:5], s[24:25]
	v_add_f64 v[78:79], v[10:11], v[14:15]
	;; [unrolled: 5-line block ×3, first 2 shown]
	v_fma_f64 v[10:11], s[10:11], v[6:7], v[8:9]
	v_fmac_f64_e32 v[8:9], s[38:39], v[6:7]
	v_mul_f64 v[4:5], v[4:5], s[20:21]
	v_add_f64 v[96:97], v[8:9], v[20:21]
	v_fma_f64 v[8:9], s[30:31], v[6:7], v[4:5]
	v_fmac_f64_e32 v[4:5], s[14:15], v[6:7]
	v_add_f64 v[100:101], v[4:5], v[0:1]
	v_lshlrev_b32_e32 v0, 3, v129
	v_add_u32_e32 v62, 0x1000, v130
	v_add3_u32 v69, 0, v0, v133
	v_add_u32_e32 v64, 0x1400, v130
	v_add_u32_e32 v63, 0x400, v130
	;; [unrolled: 1-line block ×6, first 2 shown]
	v_add_f64 v[92:93], v[10:11], v[22:23]
	v_add_f64 v[98:99], v[8:9], v[24:25]
	s_waitcnt lgkmcnt(0)
	s_barrier
	ds_read_b64 v[56:57], v132
	ds_read_b64 v[0:1], v69
	ds_read2_b64 v[28:31], v62 offset0:82 offset1:148
	v_add3_u32 v68, 0, v117, v133
	ds_read2_b64 v[24:27], v64 offset0:86 offset1:152
	ds_read2_b64 v[12:15], v63 offset0:70 offset1:136
	;; [unrolled: 1-line block ×6, first 2 shown]
	ds_read_b64 v[58:59], v68
	ds_read_b64 v[60:61], v130 offset:8976
	s_waitcnt lgkmcnt(0)
	s_barrier
	ds_write2_b64 v82, v[120:121], v[72:73] offset1:6
	ds_write2_b64 v82, v[78:79], v[84:85] offset0:12 offset1:18
	ds_write2_b64 v82, v[92:93], v[98:99] offset0:24 offset1:30
	ds_write2_b64 v82, v[100:101], v[96:97] offset0:36 offset1:42
	ds_write2_b64 v82, v[88:89], v[80:81] offset0:48 offset1:54
	ds_write_b64 v82, v[76:77] offset:480
	s_and_saveexec_b64 s[4:5], s[0:1]
	s_cbranch_execz .LBB0_20
; %bb.19:
	s_mov_b32 s0, 0x8764f0ba
	s_mov_b32 s12, 0xd9c712b6
	;; [unrolled: 1-line block ×5, first 2 shown]
	v_add_f64 v[76:77], v[94:95], v[110:111]
	s_mov_b32 s1, 0x3feaeb8c
	s_mov_b32 s10, 0xf8bb580b
	;; [unrolled: 1-line block ×10, first 2 shown]
	v_add_f64 v[72:73], v[2:3], v[94:95]
	v_add_f64 v[78:79], v[90:91], -v[108:109]
	v_mul_f64 v[80:81], v[76:77], s[0:1]
	s_mov_b32 s11, 0x3fe14ced
	s_mov_b32 s19, 0xbfe14ced
	s_mov_b32 s18, s10
	v_mul_f64 v[84:85], v[76:77], s[12:13]
	s_mov_b32 s15, 0x3fed1bb4
	s_mov_b32 s21, 0xbfed1bb4
	s_mov_b32 s20, s14
	;; [unrolled: 4-line block ×3, first 2 shown]
	v_mul_f64 v[94:95], v[76:77], s[28:29]
	s_mov_b32 s31, 0xbfe82f19
	s_mov_b32 s30, s40
	v_mul_f64 v[76:77], v[76:77], s[34:35]
	s_mov_b32 s37, 0x3fd207e7
	s_mov_b32 s39, 0xbfd207e7
	;; [unrolled: 1-line block ×3, first 2 shown]
	v_add_f64 v[72:73], v[72:73], v[52:53]
	v_fma_f64 v[82:83], s[10:11], v[78:79], v[80:81]
	v_fmac_f64_e32 v[80:81], s[18:19], v[78:79]
	v_fma_f64 v[88:89], s[14:15], v[78:79], v[84:85]
	v_fmac_f64_e32 v[84:85], s[20:21], v[78:79]
	;; [unrolled: 2-line block ×5, first 2 shown]
	v_add_f64 v[52:53], v[52:53], v[106:107]
	v_add_f64 v[82:83], v[2:3], v[82:83]
	;; [unrolled: 1-line block ×11, first 2 shown]
	v_add_f64 v[48:49], v[48:49], -v[104:105]
	v_mul_f64 v[76:77], v[52:53], s[12:13]
	v_fma_f64 v[78:79], s[14:15], v[48:49], v[76:77]
	v_fmac_f64_e32 v[76:77], s[20:21], v[48:49]
	v_add_f64 v[72:73], v[72:73], v[46:47]
	v_add_f64 v[76:77], v[76:77], v[80:81]
	v_mul_f64 v[80:81], v[52:53], s[28:29]
	v_add_f64 v[72:73], v[72:73], v[42:43]
	v_add_f64 v[78:79], v[78:79], v[82:83]
	v_fma_f64 v[82:83], s[40:41], v[48:49], v[80:81]
	v_fmac_f64_e32 v[80:81], s[30:31], v[48:49]
	v_add_f64 v[72:73], v[72:73], v[32:33]
	v_add_f64 v[80:81], v[80:81], v[84:85]
	v_mul_f64 v[84:85], v[52:53], s[34:35]
	v_add_f64 v[72:73], v[72:73], v[34:35]
	v_add_f64 v[82:83], v[82:83], v[88:89]
	;; [unrolled: 7-line block ×3, first 2 shown]
	v_fma_f64 v[92:93], s[26:27], v[48:49], v[90:91]
	v_fmac_f64_e32 v[90:91], s[24:25], v[48:49]
	v_mul_f64 v[52:53], v[52:53], s[0:1]
	v_add_f64 v[38:39], v[46:47], v[38:39]
	v_add_f64 v[90:91], v[90:91], v[94:95]
	v_fma_f64 v[94:95], s[18:19], v[48:49], v[52:53]
	v_fmac_f64_e32 v[52:53], s[10:11], v[48:49]
	v_add_f64 v[44:45], v[44:45], -v[86:87]
	v_mul_f64 v[46:47], v[38:39], s[22:23]
	v_add_f64 v[2:3], v[52:53], v[2:3]
	v_fma_f64 v[48:49], s[24:25], v[44:45], v[46:47]
	v_fmac_f64_e32 v[46:47], s[26:27], v[44:45]
	v_mul_f64 v[52:53], v[38:39], s[34:35]
	v_add_f64 v[46:47], v[46:47], v[76:77]
	v_fma_f64 v[76:77], s[38:39], v[44:45], v[52:53]
	v_add_f64 v[48:49], v[48:49], v[78:79]
	v_add_f64 v[76:77], v[76:77], v[82:83]
	v_mul_f64 v[78:79], v[38:39], s[12:13]
	v_mul_f64 v[82:83], v[38:39], s[0:1]
	;; [unrolled: 1-line block ×3, first 2 shown]
	v_fmac_f64_e32 v[52:53], s[36:37], v[44:45]
	v_fma_f64 v[86:87], s[40:41], v[44:45], v[38:39]
	v_fmac_f64_e32 v[38:39], s[30:31], v[44:45]
	v_add_f64 v[36:37], v[42:43], v[36:37]
	v_add_f64 v[52:53], v[52:53], v[80:81]
	v_fma_f64 v[80:81], s[20:21], v[44:45], v[78:79]
	v_fmac_f64_e32 v[78:79], s[14:15], v[44:45]
	v_add_f64 v[2:3], v[38:39], v[2:3]
	v_add_f64 v[38:39], v[40:41], -v[74:75]
	v_mul_f64 v[40:41], v[36:37], s[28:29]
	v_add_f64 v[78:79], v[78:79], v[84:85]
	v_fma_f64 v[84:85], s[10:11], v[44:45], v[82:83]
	v_fmac_f64_e32 v[82:83], s[18:19], v[44:45]
	v_fma_f64 v[42:43], s[40:41], v[38:39], v[40:41]
	v_fmac_f64_e32 v[40:41], s[30:31], v[38:39]
	v_mul_f64 v[44:45], v[36:37], s[22:23]
	v_add_f64 v[42:43], v[42:43], v[48:49]
	v_add_f64 v[40:41], v[40:41], v[46:47]
	v_fma_f64 v[46:47], s[26:27], v[38:39], v[44:45]
	v_fmac_f64_e32 v[44:45], s[24:25], v[38:39]
	v_mul_f64 v[48:49], v[36:37], s[0:1]
	v_add_f64 v[44:45], v[44:45], v[52:53]
	v_fma_f64 v[52:53], s[10:11], v[38:39], v[48:49]
	v_fmac_f64_e32 v[48:49], s[18:19], v[38:39]
	v_mul_f64 v[74:75], v[36:37], s[34:35]
	v_mul_f64 v[36:37], v[36:37], s[12:13]
	v_add_f64 v[48:49], v[48:49], v[78:79]
	v_fma_f64 v[78:79], s[20:21], v[38:39], v[36:37]
	v_fmac_f64_e32 v[36:37], s[14:15], v[38:39]
	v_add_f64 v[32:33], v[32:33], v[34:35]
	v_add_f64 v[2:3], v[36:37], v[2:3]
	v_add_f64 v[34:35], v[50:51], -v[54:55]
	v_mul_f64 v[36:37], v[32:33], s[34:35]
	v_add_f64 v[46:47], v[46:47], v[76:77]
	v_fma_f64 v[76:77], s[36:37], v[38:39], v[74:75]
	v_fmac_f64_e32 v[74:75], s[38:39], v[38:39]
	v_fma_f64 v[38:39], s[36:37], v[34:35], v[36:37]
	v_fmac_f64_e32 v[36:37], s[38:39], v[34:35]
	v_add_f64 v[36:37], v[36:37], v[40:41]
	v_mul_f64 v[40:41], v[32:33], s[0:1]
	v_add_f64 v[38:39], v[38:39], v[42:43]
	v_fma_f64 v[42:43], s[18:19], v[34:35], v[40:41]
	v_fmac_f64_e32 v[40:41], s[10:11], v[34:35]
	v_add_f64 v[40:41], v[40:41], v[44:45]
	v_mul_f64 v[44:45], v[32:33], s[28:29]
	v_add_f64 v[80:81], v[80:81], v[88:89]
	v_add_f64 v[42:43], v[42:43], v[46:47]
	v_fma_f64 v[46:47], s[40:41], v[34:35], v[44:45]
	v_fmac_f64_e32 v[44:45], s[30:31], v[34:35]
	v_add_f64 v[52:53], v[52:53], v[80:81]
	v_add_f64 v[44:45], v[44:45], v[48:49]
	v_mul_f64 v[48:49], v[32:33], s[12:13]
	v_mul_f64 v[32:33], v[32:33], s[22:23]
	v_add_f64 v[46:47], v[46:47], v[52:53]
	v_fma_f64 v[52:53], s[24:25], v[34:35], v[32:33]
	v_fmac_f64_e32 v[32:33], s[26:27], v[34:35]
	v_add_f64 v[92:93], v[92:93], v[96:97]
	v_add_f64 v[94:95], v[94:95], v[98:99]
	;; [unrolled: 1-line block ×3, first 2 shown]
	s_movk_i32 s0, 0x210
	v_mov_b32_e32 v33, 3
	v_add_f64 v[72:73], v[72:73], v[106:107]
	v_add_f64 v[84:85], v[84:85], v[92:93]
	;; [unrolled: 1-line block ×4, first 2 shown]
	v_mad_u32_u24 v32, v112, s0, 0
	v_lshlrev_b32_sdwa v33, v33, v113 dst_sel:DWORD dst_unused:UNUSED_PAD src0_sel:DWORD src1_sel:BYTE_0
	v_add_f64 v[72:73], v[72:73], v[110:111]
	v_add_f64 v[76:77], v[76:77], v[84:85]
	;; [unrolled: 1-line block ×4, first 2 shown]
	v_fma_f64 v[50:51], s[20:21], v[34:35], v[48:49]
	v_fmac_f64_e32 v[48:49], s[14:15], v[34:35]
	v_add3_u32 v32, v32, v33, v133
	v_add_f64 v[50:51], v[50:51], v[76:77]
	v_add_f64 v[48:49], v[48:49], v[74:75]
	;; [unrolled: 1-line block ×3, first 2 shown]
	ds_write2_b64 v32, v[72:73], v[38:39] offset1:6
	ds_write2_b64 v32, v[42:43], v[46:47] offset0:12 offset1:18
	ds_write2_b64 v32, v[50:51], v[52:53] offset0:24 offset1:30
	;; [unrolled: 1-line block ×4, first 2 shown]
	ds_write_b64 v32, v[36:37] offset:480
.LBB0_20:
	s_or_b64 exec, exec, s[4:5]
	s_movk_i32 s0, 0xf9
	v_mul_lo_u16_sdwa v34, v129, s0 dst_sel:DWORD dst_unused:UNUSED_PAD src0_sel:BYTE_0 src1_sel:DWORD
	v_lshrrev_b16_e32 v34, 14, v34
	v_mov_b32_e32 v117, 0
	v_mul_lo_u16_e32 v34, 0x42, v34
	v_add_u32_e32 v46, 0xc6, v116
	v_add_u32_e32 v40, 0x108, v116
	v_lshl_add_u64 v[2:3], v[116:117], 4, s[8:9]
	v_sub_u16_e32 v41, v129, v34
	v_mov_b32_e32 v34, 4
	s_mov_b32 s0, 0xf83f
	s_waitcnt lgkmcnt(0)
	s_barrier
	v_lshlrev_b32_sdwa v47, v34, v41 dst_sel:DWORD dst_unused:UNUSED_PAD src0_sel:DWORD src1_sel:BYTE_0
	global_load_dwordx4 v[34:37], v[2:3], off offset:960
	global_load_dwordx4 v[42:45], v47, s[8:9] offset:960
	v_mul_u32_u24_sdwa v2, v46, s0 dst_sel:DWORD dst_unused:UNUSED_PAD src0_sel:WORD_0 src1_sel:DWORD
	v_mul_u32_u24_sdwa v71, v40, s0 dst_sel:DWORD dst_unused:UNUSED_PAD src0_sel:WORD_0 src1_sel:DWORD
	v_lshrrev_b32_e32 v2, 22, v2
	v_lshrrev_b32_e32 v3, 22, v71
	v_mul_lo_u16_e32 v2, 0x42, v2
	v_mul_lo_u16_e32 v3, 0x42, v3
	v_add_u32_e32 v32, 0x14a, v116
	v_sub_u16_e32 v47, v46, v2
	v_sub_u16_e32 v138, v40, v3
	v_add_u32_e32 v33, 0x18c, v116
	v_lshlrev_b32_e32 v2, 4, v47
	v_lshlrev_b32_e32 v3, 4, v138
	v_mul_u32_u24_sdwa v139, v32, s0 dst_sel:DWORD dst_unused:UNUSED_PAD src0_sel:WORD_0 src1_sel:DWORD
	global_load_dwordx4 v[48:51], v2, s[8:9] offset:960
	global_load_dwordx4 v[52:55], v3, s[8:9] offset:960
	v_lshrrev_b32_e32 v2, 22, v139
	v_mul_u32_u24_sdwa v3, v33, s0 dst_sel:DWORD dst_unused:UNUSED_PAD src0_sel:WORD_0 src1_sel:DWORD
	v_mul_lo_u16_e32 v2, 0x42, v2
	v_lshrrev_b32_e32 v3, 22, v3
	v_sub_u16_e32 v140, v32, v2
	v_mul_lo_u16_e32 v3, 0x42, v3
	v_add_u32_e32 v38, 0x1ce, v116
	v_lshlrev_b32_e32 v2, 4, v140
	v_sub_u16_e32 v33, v33, v3
	v_lshlrev_b32_e32 v3, 4, v33
	global_load_dwordx4 v[72:75], v2, s[8:9] offset:960
	global_load_dwordx4 v[76:79], v3, s[8:9] offset:960
	v_mul_u32_u24_sdwa v2, v38, s0 dst_sel:DWORD dst_unused:UNUSED_PAD src0_sel:WORD_0 src1_sel:DWORD
	v_lshrrev_b32_e32 v2, 22, v2
	v_add_u32_e32 v39, 0x210, v116
	v_mul_lo_u16_e32 v2, 0x42, v2
	v_sub_u16_e32 v141, v38, v2
	v_mul_u32_u24_sdwa v3, v39, s0 dst_sel:DWORD dst_unused:UNUSED_PAD src0_sel:WORD_0 src1_sel:DWORD
	v_lshlrev_b32_e32 v2, 4, v141
	v_lshrrev_b32_e32 v3, 22, v3
	global_load_dwordx4 v[80:83], v2, s[8:9] offset:960
	v_mul_lo_u16_e32 v2, 0x42, v3
	v_sub_u16_e32 v142, v39, v2
	v_lshlrev_b32_e32 v2, 4, v142
	global_load_dwordx4 v[84:87], v2, s[8:9] offset:960
	ds_read_b64 v[2:3], v132
	ds_read2_b64 v[88:91], v62 offset0:82 offset1:148
	ds_read_b64 v[38:39], v69
	ds_read2_b64 v[92:95], v64 offset0:86 offset1:152
	ds_read2_b64 v[96:99], v63 offset0:70 offset1:136
	;; [unrolled: 1-line block ×6, first 2 shown]
	ds_read_b64 v[112:113], v68
	ds_read_b64 v[124:125], v130 offset:8976
	s_waitcnt lgkmcnt(0)
	s_barrier
	v_lshlrev_b32_e32 v116, 1, v116
	s_mov_b32 s0, 0xe8584caa
	s_mov_b32 s1, 0xbfebb67a
	;; [unrolled: 1-line block ×4, first 2 shown]
	s_waitcnt vmcnt(7)
	v_mul_f64 v[126:127], v[88:89], v[36:37]
	v_mul_f64 v[134:135], v[28:29], v[36:37]
	v_mul_f64 v[136:137], v[90:91], v[36:37]
	v_mul_f64 v[36:37], v[30:31], v[36:37]
	v_fmac_f64_e32 v[126:127], v[28:29], v[34:35]
	v_fma_f64 v[28:29], v[88:89], v[34:35], -v[134:135]
	v_fmac_f64_e32 v[136:137], v[30:31], v[34:35]
	v_fma_f64 v[30:31], v[90:91], v[34:35], -v[36:37]
	s_waitcnt vmcnt(6)
	v_mul_f64 v[34:35], v[92:93], v[44:45]
	v_mul_f64 v[36:37], v[24:25], v[44:45]
	v_fmac_f64_e32 v[34:35], v[24:25], v[42:43]
	v_add_f64 v[34:35], v[0:1], -v[34:35]
	v_fma_f64 v[0:1], v[0:1], 2.0, -v[34:35]
	v_fma_f64 v[24:25], v[92:93], v[42:43], -v[36:37]
	s_waitcnt vmcnt(5)
	v_mul_f64 v[44:45], v[94:95], v[50:51]
	v_mul_f64 v[50:51], v[26:27], v[50:51]
	s_waitcnt vmcnt(4)
	v_mul_f64 v[88:89], v[100:101], v[54:55]
	v_mul_f64 v[54:55], v[20:21], v[54:55]
	v_fmac_f64_e32 v[44:45], v[26:27], v[48:49]
	v_fma_f64 v[26:27], v[94:95], v[48:49], -v[50:51]
	v_fmac_f64_e32 v[88:89], v[20:21], v[52:53]
	v_fma_f64 v[20:21], v[100:101], v[52:53], -v[54:55]
	v_add_f64 v[54:55], v[56:57], -v[126:127]
	v_add_f64 v[30:31], v[112:113], -v[30:31]
	s_waitcnt vmcnt(3)
	v_mul_f64 v[36:37], v[102:103], v[74:75]
	s_waitcnt vmcnt(2)
	v_mul_f64 v[42:43], v[108:109], v[78:79]
	v_fmac_f64_e32 v[36:37], v[22:23], v[72:73]
	v_mul_f64 v[22:23], v[22:23], v[74:75]
	v_fmac_f64_e32 v[42:43], v[16:17], v[76:77]
	v_mul_f64 v[16:17], v[16:17], v[78:79]
	v_fma_f64 v[22:23], v[102:103], v[72:73], -v[22:23]
	v_fma_f64 v[16:17], v[108:109], v[76:77], -v[16:17]
	v_add_f64 v[74:75], v[38:39], -v[24:25]
	v_add_f64 v[24:25], v[12:13], -v[44:45]
	s_waitcnt vmcnt(1)
	v_mul_f64 v[48:49], v[110:111], v[82:83]
	v_fmac_f64_e32 v[48:49], v[18:19], v[80:81]
	v_mul_f64 v[18:19], v[18:19], v[82:83]
	v_fma_f64 v[18:19], v[110:111], v[80:81], -v[18:19]
	s_waitcnt vmcnt(0)
	v_mul_f64 v[50:51], v[124:125], v[86:87]
	v_fmac_f64_e32 v[50:51], v[60:61], v[84:85]
	v_mul_f64 v[52:53], v[60:61], v[86:87]
	v_add_f64 v[60:61], v[2:3], -v[28:29]
	v_fma_f64 v[28:29], v[56:57], 2.0, -v[54:55]
	v_fma_f64 v[56:57], v[2:3], 2.0, -v[60:61]
	v_add_f64 v[2:3], v[58:59], -v[136:137]
	v_fma_f64 v[58:59], v[58:59], 2.0, -v[2:3]
	ds_write2_b64 v130, v[28:29], v[54:55] offset1:66
	ds_write2_b64 v130, v[58:59], v[2:3] offset0:132 offset1:198
	v_mov_b32_e32 v2, 3
	v_lshlrev_b32_sdwa v2, v2, v41 dst_sel:DWORD dst_unused:UNUSED_PAD src0_sel:DWORD src1_sel:BYTE_0
	v_add3_u32 v2, 0, v2, v133
	v_add_u32_e32 v41, 0x800, v2
	ds_write2_b64 v41, v[0:1], v[34:35] offset0:8 offset1:74
	v_lshlrev_b32_e32 v0, 3, v47
	v_add3_u32 v0, 0, v0, v133
	v_add_u32_e32 v47, 0x800, v0
	v_lshlrev_b32_e32 v0, 3, v138
	v_add3_u32 v0, 0, v0, v133
	v_add_u32_e32 v54, 0x1000, v0
	;; [unrolled: 3-line block ×5, first 2 shown]
	v_lshlrev_b32_e32 v0, 3, v142
	v_fma_f64 v[52:53], v[124:125], v[84:85], -v[52:53]
	v_add_f64 v[44:45], v[96:97], -v[26:27]
	v_add_f64 v[26:27], v[14:15], -v[88:89]
	;; [unrolled: 1-line block ×10, first 2 shown]
	v_add3_u32 v0, 0, v0, v133
	v_fma_f64 v[12:13], v[12:13], 2.0, -v[24:25]
	v_fma_f64 v[14:15], v[14:15], 2.0, -v[26:27]
	;; [unrolled: 1-line block ×5, first 2 shown]
	v_add_f64 v[52:53], v[122:123], -v[52:53]
	v_fma_f64 v[6:7], v[6:7], 2.0, -v[18:19]
	v_add_u32_e32 v59, 0x2000, v0
	v_fma_f64 v[72:73], v[112:113], 2.0, -v[30:31]
	v_fma_f64 v[38:39], v[38:39], 2.0, -v[74:75]
	;; [unrolled: 1-line block ×8, first 2 shown]
	ds_write2_b64 v47, v[12:13], v[24:25] offset0:140 offset1:206
	ds_write2_b64 v54, v[14:15], v[26:27] offset0:16 offset1:82
	;; [unrolled: 1-line block ×6, first 2 shown]
	s_waitcnt lgkmcnt(0)
	s_barrier
	ds_read_b64 v[8:9], v132
	ds_read2_b64 v[0:3], v70 offset0:74 offset1:140
	ds_read2_b64 v[14:17], v64 offset0:86 offset1:152
	;; [unrolled: 1-line block ×4, first 2 shown]
	ds_read_b64 v[10:11], v69
	ds_read2_b64 v[4:7], v63 offset0:70 offset1:136
	ds_read2_b64 v[26:29], v62 offset0:82 offset1:148
	;; [unrolled: 1-line block ×3, first 2 shown]
	ds_read_b64 v[12:13], v68
	ds_read_b64 v[34:35], v130 offset:8976
	s_waitcnt lgkmcnt(0)
	s_barrier
	ds_write2_b64 v130, v[56:57], v[60:61] offset1:66
	ds_write2_b64 v130, v[72:73], v[30:31] offset0:132 offset1:198
	ds_write2_b64 v41, v[38:39], v[74:75] offset0:8 offset1:74
	;; [unrolled: 1-line block ×8, first 2 shown]
	v_lshl_add_u64 v[44:45], v[116:117], 4, s[8:9]
	s_waitcnt lgkmcnt(0)
	s_barrier
	global_load_dwordx4 v[52:55], v[44:45], off offset:2016
	global_load_dwordx4 v[56:59], v[44:45], off offset:2032
	v_lshlrev_b32_e32 v116, 1, v131
	v_lshl_add_u64 v[36:37], v[116:117], 4, s[8:9]
	global_load_dwordx4 v[72:75], v[36:37], off offset:2016
	global_load_dwordx4 v[76:79], v[36:37], off offset:2032
	v_lshrrev_b32_e32 v30, 23, v71
	v_mul_lo_u16_e32 v30, 0x84, v30
	v_sub_u16_e32 v33, v40, v30
	v_lshlrev_b32_e32 v30, 5, v33
	global_load_dwordx4 v[80:83], v30, s[8:9] offset:2016
	global_load_dwordx4 v[84:87], v30, s[8:9] offset:2032
	v_lshrrev_b32_e32 v30, 23, v139
	v_mul_lo_u16_e32 v30, 0x84, v30
	v_sub_u16_e32 v41, v32, v30
	v_lshlrev_b32_e32 v30, 5, v41
	global_load_dwordx4 v[88:91], v30, s[8:9] offset:2016
	global_load_dwordx4 v[92:95], v30, s[8:9] offset:2032
	ds_read_b64 v[30:31], v132
	ds_read2_b64 v[96:99], v70 offset0:74 offset1:140
	ds_read2_b64 v[100:103], v64 offset0:86 offset1:152
	;; [unrolled: 1-line block ×4, first 2 shown]
	ds_read_b64 v[42:43], v69
	ds_read2_b64 v[120:123], v63 offset0:70 offset1:136
	ds_read2_b64 v[124:127], v62 offset0:82 offset1:148
	;; [unrolled: 1-line block ×3, first 2 shown]
	ds_read_b64 v[112:113], v68
	ds_read_b64 v[38:39], v130 offset:8976
	s_waitcnt lgkmcnt(0)
	s_barrier
	v_add_u32_e32 v47, 0xc00, v68
	s_waitcnt vmcnt(7)
	v_mul_f64 v[60:61], v[98:99], v[54:55]
	v_fmac_f64_e32 v[60:61], v[2:3], v[52:53]
	v_mul_f64 v[2:3], v[2:3], v[54:55]
	v_fma_f64 v[2:3], v[98:99], v[52:53], -v[2:3]
	s_waitcnt vmcnt(6)
	v_mul_f64 v[98:99], v[102:103], v[58:59]
	v_fmac_f64_e32 v[98:99], v[16:17], v[56:57]
	v_mul_f64 v[16:17], v[16:17], v[58:59]
	v_fma_f64 v[16:17], v[102:103], v[56:57], -v[16:17]
	;; [unrolled: 5-line block ×4, first 2 shown]
	v_mul_f64 v[108:109], v[106:107], v[54:55]
	v_fmac_f64_e32 v[108:109], v[20:21], v[52:53]
	v_mul_f64 v[20:21], v[20:21], v[54:55]
	v_fma_f64 v[20:21], v[106:107], v[52:53], -v[20:21]
	v_mul_f64 v[52:53], v[110:111], v[58:59]
	v_fmac_f64_e32 v[52:53], v[24:25], v[56:57]
	v_mul_f64 v[24:25], v[24:25], v[58:59]
	v_fma_f64 v[24:25], v[110:111], v[56:57], -v[24:25]
	;; [unrolled: 4-line block ×3, first 2 shown]
	s_waitcnt vmcnt(0)
	v_mul_f64 v[76:77], v[38:39], v[94:95]
	v_mul_f64 v[58:59], v[126:127], v[82:83]
	v_fmac_f64_e32 v[76:77], v[34:35], v[92:93]
	v_mul_f64 v[34:35], v[34:35], v[94:95]
	v_add_f64 v[78:79], v[60:61], v[98:99]
	v_fmac_f64_e32 v[58:59], v[28:29], v[80:81]
	v_mul_f64 v[28:29], v[28:29], v[82:83]
	v_fma_f64 v[34:35], v[38:39], v[92:93], -v[34:35]
	v_add_f64 v[38:39], v[8:9], v[60:61]
	v_fmac_f64_e32 v[8:9], -0.5, v[78:79]
	v_add_f64 v[78:79], v[2:3], -v[16:17]
	v_mul_f64 v[54:55], v[124:125], v[74:75]
	v_fma_f64 v[28:29], v[126:127], v[80:81], -v[28:29]
	v_fma_f64 v[80:81], s[0:1], v[78:79], v[8:9]
	v_fmac_f64_e32 v[8:9], s[4:5], v[78:79]
	v_add_f64 v[78:79], v[30:31], v[2:3]
	v_add_f64 v[2:3], v[2:3], v[16:17]
	v_fmac_f64_e32 v[54:55], v[26:27], v[72:73]
	v_mul_f64 v[26:27], v[26:27], v[74:75]
	v_add_f64 v[78:79], v[78:79], v[16:17]
	v_fmac_f64_e32 v[30:31], -0.5, v[2:3]
	v_add_f64 v[2:3], v[60:61], -v[98:99]
	v_add_f64 v[16:17], v[102:103], v[104:105]
	v_fma_f64 v[26:27], v[124:125], v[72:73], -v[26:27]
	v_mul_f64 v[72:73], v[136:137], v[86:87]
	v_fma_f64 v[82:83], s[4:5], v[2:3], v[30:31]
	v_fmac_f64_e32 v[30:31], s[0:1], v[2:3]
	v_add_f64 v[2:3], v[12:13], v[102:103]
	v_fmac_f64_e32 v[12:13], -0.5, v[16:17]
	v_add_f64 v[16:17], v[18:19], -v[22:23]
	v_fmac_f64_e32 v[72:73], v[50:51], v[84:85]
	v_mul_f64 v[50:51], v[50:51], v[86:87]
	v_fma_f64 v[60:61], s[0:1], v[16:17], v[12:13]
	v_fmac_f64_e32 v[12:13], s[4:5], v[16:17]
	v_add_f64 v[16:17], v[112:113], v[18:19]
	v_fma_f64 v[50:51], v[136:137], v[84:85], -v[50:51]
	v_add_f64 v[84:85], v[16:17], v[22:23]
	v_add_f64 v[16:17], v[18:19], v[22:23]
	v_fmac_f64_e32 v[112:113], -0.5, v[16:17]
	v_add_f64 v[16:17], v[102:103], -v[104:105]
	v_add_f64 v[18:19], v[108:109], v[52:53]
	v_mul_f64 v[74:75], v[100:101], v[90:91]
	v_fma_f64 v[86:87], s[4:5], v[16:17], v[112:113]
	v_fmac_f64_e32 v[112:113], s[0:1], v[16:17]
	v_add_f64 v[16:17], v[10:11], v[108:109]
	v_fmac_f64_e32 v[10:11], -0.5, v[18:19]
	v_add_f64 v[18:19], v[20:21], -v[24:25]
	v_fmac_f64_e32 v[74:75], v[14:15], v[88:89]
	v_mul_f64 v[14:15], v[14:15], v[90:91]
	v_fma_f64 v[22:23], s[0:1], v[18:19], v[10:11]
	v_fmac_f64_e32 v[10:11], s[4:5], v[18:19]
	v_add_f64 v[18:19], v[42:43], v[20:21]
	v_fma_f64 v[14:15], v[100:101], v[88:89], -v[14:15]
	v_add_f64 v[88:89], v[18:19], v[24:25]
	v_add_f64 v[18:19], v[20:21], v[24:25]
	v_fmac_f64_e32 v[42:43], -0.5, v[18:19]
	v_add_f64 v[18:19], v[108:109], -v[52:53]
	v_add_f64 v[20:21], v[54:55], v[56:57]
	v_add_f64 v[16:17], v[16:17], v[52:53]
	v_fma_f64 v[52:53], s[4:5], v[18:19], v[42:43]
	v_fmac_f64_e32 v[42:43], s[0:1], v[18:19]
	v_add_f64 v[18:19], v[4:5], v[54:55]
	v_fma_f64 v[4:5], -0.5, v[20:21], v[4:5]
	v_add_f64 v[20:21], v[26:27], -v[48:49]
	v_fma_f64 v[24:25], s[0:1], v[20:21], v[4:5]
	v_fmac_f64_e32 v[4:5], s[4:5], v[20:21]
	v_add_f64 v[20:21], v[120:121], v[26:27]
	v_add_f64 v[90:91], v[20:21], v[48:49]
	v_add_f64 v[20:21], v[26:27], v[48:49]
	v_fma_f64 v[48:49], -0.5, v[20:21], v[120:121]
	v_add_f64 v[20:21], v[54:55], -v[56:57]
	v_add_f64 v[26:27], v[58:59], v[72:73]
	v_fma_f64 v[54:55], s[4:5], v[20:21], v[48:49]
	v_fmac_f64_e32 v[48:49], s[0:1], v[20:21]
	v_add_f64 v[20:21], v[6:7], v[58:59]
	v_fmac_f64_e32 v[6:7], -0.5, v[26:27]
	v_add_f64 v[26:27], v[28:29], -v[50:51]
	v_add_f64 v[18:19], v[18:19], v[56:57]
	v_fma_f64 v[56:57], s[0:1], v[26:27], v[6:7]
	v_fmac_f64_e32 v[6:7], s[4:5], v[26:27]
	v_add_f64 v[26:27], v[122:123], v[28:29]
	v_add_f64 v[38:39], v[38:39], v[98:99]
	;; [unrolled: 1-line block ×5, first 2 shown]
	v_fmac_f64_e32 v[122:123], -0.5, v[26:27]
	v_add_f64 v[26:27], v[58:59], -v[72:73]
	v_add_f64 v[50:51], v[74:75], v[76:77]
	ds_write2_b64 v130, v[38:39], v[80:81] offset1:132
	ds_write_b64 v130, v[8:9] offset:2112
	ds_write2_b64 v68, v[2:3], v[60:61] offset1:132
	ds_write_b64 v68, v[12:13] offset:2112
	ds_write2_b64 v66, v[16:17], v[22:23] offset0:12 offset1:144
	ds_write_b64 v130, v[10:11] offset:5280
	v_lshlrev_b32_e32 v2, 3, v33
	v_fma_f64 v[28:29], s[4:5], v[26:27], v[122:123]
	v_fmac_f64_e32 v[122:123], s[0:1], v[26:27]
	v_add_f64 v[26:27], v[0:1], v[74:75]
	v_fmac_f64_e32 v[0:1], -0.5, v[50:51]
	v_add_f64 v[50:51], v[14:15], -v[34:35]
	v_add3_u32 v33, 0, v2, v133
	v_lshlrev_b32_e32 v2, 3, v41
	v_add_f64 v[20:21], v[20:21], v[72:73]
	v_fma_f64 v[58:59], s[0:1], v[50:51], v[0:1]
	v_fmac_f64_e32 v[0:1], s[4:5], v[50:51]
	v_add_f64 v[50:51], v[96:97], v[14:15]
	v_add_f64 v[14:15], v[14:15], v[34:35]
	v_add_u32_e32 v71, 0x1800, v33
	v_add3_u32 v41, 0, v2, v133
	v_add_f64 v[26:27], v[26:27], v[76:77]
	v_fmac_f64_e32 v[96:97], -0.5, v[14:15]
	v_add_f64 v[14:15], v[74:75], -v[76:77]
	ds_write2_b64 v47, v[18:19], v[24:25] offset0:12 offset1:144
	ds_write_b64 v68, v[4:5] offset:5280
	ds_write2_b64 v71, v[20:21], v[56:57] offset0:24 offset1:156
	ds_write_b64 v33, v[6:7] offset:8448
	v_add_u32_e32 v56, 0x1800, v41
	v_add_f64 v[50:51], v[50:51], v[34:35]
	v_fma_f64 v[34:35], s[4:5], v[14:15], v[96:97]
	v_fmac_f64_e32 v[96:97], s[0:1], v[14:15]
	ds_write2_b64 v56, v[26:27], v[58:59] offset0:24 offset1:156
	ds_write_b64 v41, v[0:1] offset:8448
	s_waitcnt lgkmcnt(0)
	s_barrier
	ds_read_b64 v[60:61], v132
	ds_read2_b64 v[4:7], v70 offset0:74 offset1:140
	ds_read2_b64 v[0:3], v64 offset0:86 offset1:152
	;; [unrolled: 1-line block ×4, first 2 shown]
	ds_read_b64 v[64:65], v69
	ds_read2_b64 v[16:19], v63 offset0:70 offset1:136
	ds_read2_b64 v[24:27], v62 offset0:82 offset1:148
	;; [unrolled: 1-line block ×3, first 2 shown]
	ds_read_b64 v[62:63], v68
	ds_read_b64 v[38:39], v130 offset:8976
	s_waitcnt lgkmcnt(0)
	s_barrier
	ds_write2_b64 v130, v[78:79], v[82:83] offset1:132
	ds_write_b64 v130, v[30:31] offset:2112
	ds_write2_b64 v68, v[84:85], v[86:87] offset1:132
	ds_write_b64 v68, v[112:113] offset:2112
	ds_write2_b64 v66, v[88:89], v[52:53] offset0:12 offset1:144
	ds_write_b64 v130, v[42:43] offset:5280
	ds_write2_b64 v47, v[90:91], v[54:55] offset0:12 offset1:144
	;; [unrolled: 2-line block ×4, first 2 shown]
	ds_write_b64 v41, v[96:97] offset:8448
	s_waitcnt lgkmcnt(0)
	s_barrier
	s_and_saveexec_b64 s[10:11], vcc
	s_cbranch_execz .LBB0_22
; %bb.21:
	v_lshlrev_b32_e32 v116, 1, v32
	v_lshl_add_u64 v[28:29], v[116:117], 4, s[8:9]
	v_add_co_u32_e32 v48, vcc, 0x1000, v28
	s_mov_b64 s[10:11], 0x1860
	s_nop 0
	v_addc_co_u32_e32 v49, vcc, 0, v29, vcc
	v_lshlrev_b32_e32 v116, 1, v40
	v_lshl_add_u64 v[42:43], v[28:29], 0, s[10:11]
	s_movk_i32 s12, 0x1000
	global_load_dwordx4 v[28:31], v[48:49], off offset:2144
	global_load_dwordx4 v[32:35], v[42:43], off offset:16
	v_lshl_add_u64 v[48:49], v[116:117], 4, s[8:9]
	v_add_co_u32_e32 v40, vcc, s12, v48
	v_lshlrev_b32_e32 v116, 1, v46
	s_nop 0
	v_addc_co_u32_e32 v41, vcc, 0, v49, vcc
	v_lshl_add_u64 v[48:49], v[48:49], 0, s[10:11]
	global_load_dwordx4 v[40:43], v[40:41], off offset:2144
	v_lshl_add_u64 v[46:47], v[116:117], 4, s[8:9]
	global_load_dwordx4 v[48:51], v[48:49], off offset:16
	v_add_co_u32_e32 v52, vcc, s12, v46
	v_lshl_add_u64 v[96:97], v[36:37], 0, s[10:11]
	s_nop 0
	v_addc_co_u32_e32 v53, vcc, 0, v47, vcc
	global_load_dwordx4 v[52:55], v[52:53], off offset:2144
	v_lshl_add_u64 v[46:47], v[46:47], 0, s[10:11]
	global_load_dwordx4 v[56:59], v[46:47], off offset:16
	v_add_co_u32_e32 v36, vcc, s12, v36
	v_mul_lo_u32 v70, s3, v118
	v_mul_lo_u32 v71, s2, v119
	v_mad_u64_u32 v[66:67], s[2:3], s2, v118, 0
	v_add_u32_e32 v72, 0x800, v130
	v_add_u32_e32 v73, 0x1400, v130
	;; [unrolled: 1-line block ×5, first 2 shown]
	v_addc_co_u32_e32 v37, vcc, 0, v37, vcc
	v_lshlrev_b32_e32 v116, 1, v129
	ds_read_b64 v[112:113], v69
	ds_read_b64 v[118:119], v68
	ds_read_b64 v[46:47], v130 offset:8976
	ds_read_b64 v[120:121], v132
	v_add3_u32 v67, v67, v71, v70
	ds_read2_b64 v[68:71], v72 offset0:74 offset1:140
	ds_read2_b64 v[72:75], v73 offset0:86 offset1:152
	;; [unrolled: 1-line block ×5, first 2 shown]
	global_load_dwordx4 v[88:91], v[36:37], off offset:2144
	global_load_dwordx4 v[92:95], v[96:97], off offset:16
	v_lshl_add_u64 v[36:37], v[116:117], 4, s[8:9]
	v_add_co_u32_e32 v96, vcc, s12, v36
	s_waitcnt vmcnt(6)
	v_mul_f64 v[104:105], v[38:39], v[34:35]
	v_addc_co_u32_e32 v97, vcc, 0, v37, vcc
	v_lshl_add_u64 v[36:37], v[36:37], 0, s[10:11]
	global_load_dwordx4 v[96:99], v[96:97], off offset:2144
	s_waitcnt lgkmcnt(6)
	v_mul_f64 v[106:107], v[46:47], v[34:35]
	global_load_dwordx4 v[100:103], v[36:37], off offset:16
	v_mul_f64 v[36:37], v[0:1], v[30:31]
	s_waitcnt lgkmcnt(3)
	v_mul_f64 v[30:31], v[72:73], v[30:31]
	v_fma_f64 v[34:35], v[72:73], v[28:29], -v[36:37]
	v_fma_f64 v[36:37], v[46:47], v[32:33], -v[104:105]
	v_fmac_f64_e32 v[30:31], v[0:1], v[28:29]
	v_fmac_f64_e32 v[106:107], v[38:39], v[32:33]
	v_add_f64 v[0:1], v[34:35], v[36:37]
	v_add_f64 v[32:33], v[68:69], v[34:35]
	;; [unrolled: 1-line block ×3, first 2 shown]
	s_waitcnt vmcnt(7)
	v_mul_f64 v[108:109], v[26:27], v[42:43]
	v_add_f64 v[28:29], v[30:31], -v[106:107]
	v_add_f64 v[72:73], v[34:35], -v[36:37]
	v_add_f64 v[30:31], v[4:5], v[30:31]
	v_fma_f64 v[34:35], -0.5, v[0:1], v[68:69]
	v_add_f64 v[38:39], v[32:33], v[36:37]
	v_fma_f64 v[32:33], -0.5, v[46:47], v[4:5]
	s_waitcnt vmcnt(6)
	v_mul_f64 v[4:5], v[22:23], v[50:51]
	s_waitcnt lgkmcnt(1)
	v_mul_f64 v[68:69], v[82:83], v[42:43]
	v_fma_f64 v[0:1], v[82:83], v[40:41], -v[108:109]
	s_waitcnt lgkmcnt(0)
	v_fma_f64 v[4:5], v[86:87], v[48:49], -v[4:5]
	v_fmac_f64_e32 v[68:69], v[26:27], v[40:41]
	v_mul_f64 v[26:27], v[86:87], v[50:51]
	v_add_f64 v[46:47], v[0:1], v[4:5]
	v_fmac_f64_e32 v[26:27], v[22:23], v[48:49]
	v_fma_f64 v[46:47], -0.5, v[46:47], v[78:79]
	v_add_f64 v[22:23], v[68:69], -v[26:27]
	v_fma_f64 v[42:43], s[0:1], v[22:23], v[46:47]
	v_fmac_f64_e32 v[46:47], s[4:5], v[22:23]
	v_add_f64 v[22:23], v[78:79], v[0:1]
	v_add_f64 v[50:51], v[22:23], v[4:5]
	v_add_co_u32_e32 v22, vcc, s12, v44
	v_add_f64 v[36:37], v[30:31], v[106:107]
	s_nop 0
	v_addc_co_u32_e32 v23, vcc, 0, v45, vcc
	global_load_dwordx4 v[104:107], v[22:23], off offset:2144
	v_lshl_add_u64 v[22:23], v[44:45], 0, s[10:11]
	global_load_dwordx4 v[108:111], v[22:23], off offset:16
	v_add_f64 v[0:1], v[0:1], -v[4:5]
	v_add_f64 v[4:5], v[68:69], v[26:27]
	v_fma_f64 v[44:45], -0.5, v[4:5], v[18:19]
	v_fma_f64 v[40:41], s[4:5], v[0:1], v[44:45]
	v_fmac_f64_e32 v[44:45], s[0:1], v[0:1]
	v_add_f64 v[0:1], v[18:19], v[68:69]
	v_add_f64 v[48:49], v[0:1], v[26:27]
	s_waitcnt vmcnt(7)
	v_mul_f64 v[0:1], v[24:25], v[54:55]
	s_waitcnt vmcnt(6)
	v_mul_f64 v[4:5], v[20:21], v[58:59]
	v_mul_f64 v[22:23], v[80:81], v[54:55]
	v_fma_f64 v[0:1], v[80:81], v[52:53], -v[0:1]
	v_fma_f64 v[4:5], v[84:85], v[56:57], -v[4:5]
	v_fmac_f64_e32 v[22:23], v[24:25], v[52:53]
	v_mul_f64 v[52:53], v[84:85], v[58:59]
	v_add_f64 v[18:19], v[0:1], v[4:5]
	v_fmac_f64_e32 v[52:53], v[20:21], v[56:57]
	v_fma_f64 v[26:27], -0.5, v[18:19], v[76:77]
	v_add_f64 v[18:19], v[22:23], -v[52:53]
	v_fma_f64 v[20:21], s[0:1], v[18:19], v[26:27]
	v_fmac_f64_e32 v[26:27], s[4:5], v[18:19]
	v_add_f64 v[18:19], v[76:77], v[0:1]
	v_add_f64 v[54:55], v[18:19], v[4:5]
	v_add_f64 v[0:1], v[0:1], -v[4:5]
	v_add_f64 v[4:5], v[22:23], v[52:53]
	v_fma_f64 v[24:25], -0.5, v[4:5], v[16:17]
	v_add_u32_e32 v4, 0xc00, v130
	ds_read2_b64 v[56:59], v4 offset0:78 offset1:144
	v_add_u32_e32 v4, 0x1800, v130
	ds_read2_b64 v[76:79], v4 offset0:90 offset1:156
	v_fma_f64 v[18:19], s[4:5], v[0:1], v[24:25]
	v_fmac_f64_e32 v[24:25], s[0:1], v[0:1]
	v_add_f64 v[0:1], v[16:17], v[22:23]
	v_add_f64 v[52:53], v[0:1], v[52:53]
	v_fma_f64 v[30:31], s[0:1], v[28:29], v[34:35]
	v_fmac_f64_e32 v[34:35], s[4:5], v[28:29]
	v_fma_f64 v[28:29], s[4:5], v[72:73], v[32:33]
	v_fmac_f64_e32 v[32:33], s[0:1], v[72:73]
	s_waitcnt vmcnt(3)
	v_mul_f64 v[0:1], v[14:15], v[98:99]
	s_waitcnt lgkmcnt(1)
	v_fma_f64 v[0:1], v[58:59], v[96:97], -v[0:1]
	s_waitcnt vmcnt(2)
	v_mul_f64 v[4:5], v[10:11], v[102:103]
	s_waitcnt lgkmcnt(0)
	v_fma_f64 v[4:5], v[78:79], v[100:101], -v[4:5]
	v_mul_f64 v[22:23], v[58:59], v[98:99]
	v_mul_f64 v[58:59], v[78:79], v[102:103]
	v_add_f64 v[16:17], v[0:1], v[4:5]
	v_fmac_f64_e32 v[22:23], v[14:15], v[96:97]
	v_fmac_f64_e32 v[58:59], v[10:11], v[100:101]
	v_fma_f64 v[16:17], -0.5, v[16:17], v[112:113]
	v_add_f64 v[10:11], v[22:23], -v[58:59]
	v_fma_f64 v[80:81], s[0:1], v[10:11], v[16:17]
	v_fmac_f64_e32 v[16:17], s[4:5], v[10:11]
	v_add_f64 v[10:11], v[112:113], v[0:1]
	v_add_f64 v[84:85], v[10:11], v[4:5]
	v_add_f64 v[0:1], v[0:1], -v[4:5]
	v_add_f64 v[4:5], v[22:23], v[58:59]
	v_fma_f64 v[14:15], -0.5, v[4:5], v[64:65]
	v_fma_f64 v[78:79], s[4:5], v[0:1], v[14:15]
	v_fmac_f64_e32 v[14:15], s[0:1], v[0:1]
	v_add_f64 v[0:1], v[64:65], v[22:23]
	v_add_f64 v[82:83], v[0:1], v[58:59]
	v_mul_f64 v[0:1], v[12:13], v[90:91]
	v_mul_f64 v[4:5], v[8:9], v[94:95]
	;; [unrolled: 1-line block ×3, first 2 shown]
	v_fma_f64 v[0:1], v[56:57], v[88:89], -v[0:1]
	v_fma_f64 v[4:5], v[76:77], v[92:93], -v[4:5]
	v_fmac_f64_e32 v[22:23], v[12:13], v[88:89]
	v_mul_f64 v[12:13], v[76:77], v[94:95]
	v_add_f64 v[10:11], v[0:1], v[4:5]
	v_fmac_f64_e32 v[12:13], v[8:9], v[92:93]
	v_fma_f64 v[10:11], -0.5, v[10:11], v[118:119]
	v_add_f64 v[8:9], v[22:23], -v[12:13]
	v_fma_f64 v[58:59], s[0:1], v[8:9], v[10:11]
	v_fmac_f64_e32 v[10:11], s[4:5], v[8:9]
	v_add_f64 v[8:9], v[118:119], v[0:1]
	v_add_f64 v[64:65], v[8:9], v[4:5]
	v_add_f64 v[0:1], v[0:1], -v[4:5]
	v_add_f64 v[4:5], v[22:23], v[12:13]
	v_fma_f64 v[8:9], -0.5, v[4:5], v[62:63]
	v_fma_f64 v[56:57], s[4:5], v[0:1], v[8:9]
	v_fmac_f64_e32 v[8:9], s[0:1], v[0:1]
	v_add_f64 v[0:1], v[62:63], v[22:23]
	v_add_f64 v[62:63], v[0:1], v[12:13]
	s_waitcnt vmcnt(1)
	v_mul_f64 v[0:1], v[6:7], v[106:107]
	s_waitcnt vmcnt(0)
	v_mul_f64 v[4:5], v[2:3], v[110:111]
	v_mul_f64 v[22:23], v[70:71], v[106:107]
	v_fma_f64 v[0:1], v[70:71], v[104:105], -v[0:1]
	v_fma_f64 v[12:13], v[74:75], v[108:109], -v[4:5]
	v_fmac_f64_e32 v[22:23], v[6:7], v[104:105]
	v_mul_f64 v[6:7], v[74:75], v[110:111]
	v_add_f64 v[4:5], v[0:1], v[12:13]
	v_fmac_f64_e32 v[6:7], v[2:3], v[108:109]
	v_fma_f64 v[4:5], -0.5, v[4:5], v[120:121]
	v_add_f64 v[2:3], v[22:23], -v[6:7]
	v_fma_f64 v[70:71], s[0:1], v[2:3], v[4:5]
	v_fmac_f64_e32 v[4:5], s[4:5], v[2:3]
	v_add_f64 v[2:3], v[120:121], v[0:1]
	v_add_f64 v[74:75], v[2:3], v[12:13]
	;; [unrolled: 1-line block ×3, first 2 shown]
	v_add_f64 v[0:1], v[0:1], -v[12:13]
	v_fma_f64 v[2:3], -0.5, v[2:3], v[60:61]
	v_fma_f64 v[68:69], s[4:5], v[0:1], v[2:3]
	v_fmac_f64_e32 v[2:3], s[0:1], v[0:1]
	v_add_f64 v[0:1], v[60:61], v[22:23]
	s_mov_b32 s0, 0xa57eb503
	v_add_f64 v[72:73], v[0:1], v[6:7]
	v_mul_hi_u32 v0, v128, s0
	v_lshrrev_b32_e32 v0, 8, v0
	v_mul_u32_u24_e32 v0, 0x18c, v0
	v_sub_u32_e32 v22, v128, v0
	v_mad_u64_u32 v[0:1], s[2:3], s16, v22, 0
	v_mov_b32_e32 v6, v1
	v_mad_u64_u32 v[6:7], s[2:3], s17, v22, v[6:7]
	v_mov_b32_e32 v1, v6
	v_lshl_add_u64 v[6:7], v[66:67], 4, s[6:7]
	v_lshl_add_u64 v[6:7], v[114:115], 4, v[6:7]
	;; [unrolled: 1-line block ×3, first 2 shown]
	v_add_u32_e32 v13, 0x18c, v22
	global_store_dwordx4 v[0:1], v[72:75], off
	v_mad_u64_u32 v[0:1], s[2:3], s16, v13, 0
	v_mov_b32_e32 v12, v1
	v_mad_u64_u32 v[12:13], s[2:3], s17, v13, v[12:13]
	v_mov_b32_e32 v1, v12
	v_lshl_add_u64 v[0:1], v[0:1], 4, v[6:7]
	global_store_dwordx4 v[0:1], v[2:5], off
	s_movk_i32 s1, 0x4a4
	s_nop 0
	v_add_u32_e32 v3, 0x318, v22
	v_mad_u64_u32 v[0:1], s[2:3], s16, v3, 0
	v_mov_b32_e32 v2, v1
	v_mad_u64_u32 v[2:3], s[2:3], s17, v3, v[2:3]
	v_mov_b32_e32 v1, v2
	v_lshl_add_u64 v[0:1], v[0:1], 4, v[6:7]
	global_store_dwordx4 v[0:1], v[68:71], off
	v_add_u32_e32 v0, 0x42, v128
	v_mul_hi_u32 v1, v0, s0
	v_lshrrev_b32_e32 v1, 8, v1
	v_mul_u32_u24_e32 v2, 0x18c, v1
	v_sub_u32_e32 v0, v0, v2
	v_mad_u32_u24 v4, v1, s1, v0
	v_mad_u64_u32 v[0:1], s[2:3], s16, v4, 0
	v_mov_b32_e32 v2, v1
	v_mad_u64_u32 v[2:3], s[2:3], s17, v4, v[2:3]
	v_mov_b32_e32 v1, v2
	v_lshl_add_u64 v[0:1], v[0:1], 4, v[6:7]
	v_add_u32_e32 v3, 0x18c, v4
	global_store_dwordx4 v[0:1], v[62:65], off
	v_mad_u64_u32 v[0:1], s[2:3], s16, v3, 0
	v_mov_b32_e32 v2, v1
	v_mad_u64_u32 v[2:3], s[2:3], s17, v3, v[2:3]
	v_mov_b32_e32 v1, v2
	v_lshl_add_u64 v[0:1], v[0:1], 4, v[6:7]
	v_add_u32_e32 v3, 0x318, v4
	global_store_dwordx4 v[0:1], v[8:11], off
	v_mad_u64_u32 v[0:1], s[2:3], s16, v3, 0
	v_mov_b32_e32 v2, v1
	v_mad_u64_u32 v[2:3], s[2:3], s17, v3, v[2:3]
	v_mov_b32_e32 v1, v2
	v_lshl_add_u64 v[0:1], v[0:1], 4, v[6:7]
	global_store_dwordx4 v[0:1], v[56:59], off
	v_add_u32_e32 v0, 0x84, v128
	v_mul_hi_u32 v1, v0, s0
	v_lshrrev_b32_e32 v1, 8, v1
	v_mul_u32_u24_e32 v2, 0x18c, v1
	v_sub_u32_e32 v0, v0, v2
	v_mad_u32_u24 v4, v1, s1, v0
	v_mad_u64_u32 v[0:1], s[2:3], s16, v4, 0
	v_mov_b32_e32 v2, v1
	v_mad_u64_u32 v[2:3], s[2:3], s17, v4, v[2:3]
	v_mov_b32_e32 v1, v2
	v_lshl_add_u64 v[0:1], v[0:1], 4, v[6:7]
	v_add_u32_e32 v3, 0x18c, v4
	global_store_dwordx4 v[0:1], v[82:85], off
	v_mad_u64_u32 v[0:1], s[2:3], s16, v3, 0
	v_mov_b32_e32 v2, v1
	v_mad_u64_u32 v[2:3], s[2:3], s17, v3, v[2:3]
	v_mov_b32_e32 v1, v2
	v_lshl_add_u64 v[0:1], v[0:1], 4, v[6:7]
	v_add_u32_e32 v3, 0x318, v4
	global_store_dwordx4 v[0:1], v[14:17], off
	;; [unrolled: 26-line block ×5, first 2 shown]
	v_mad_u64_u32 v[0:1], s[0:1], s16, v3, 0
	v_mov_b32_e32 v2, v1
	v_mad_u64_u32 v[2:3], s[0:1], s17, v3, v[2:3]
	v_mov_b32_e32 v1, v2
	v_lshl_add_u64 v[0:1], v[0:1], 4, v[6:7]
	global_store_dwordx4 v[0:1], v[28:31], off
.LBB0_22:
	s_endpgm
	.section	.rodata,"a",@progbits
	.p2align	6, 0x0
	.amdhsa_kernel fft_rtc_back_len1188_factors_6_11_2_3_3_wgs_198_tpt_66_halfLds_dp_op_CI_CI_sbrr_dirReg
		.amdhsa_group_segment_fixed_size 0
		.amdhsa_private_segment_fixed_size 0
		.amdhsa_kernarg_size 104
		.amdhsa_user_sgpr_count 2
		.amdhsa_user_sgpr_dispatch_ptr 0
		.amdhsa_user_sgpr_queue_ptr 0
		.amdhsa_user_sgpr_kernarg_segment_ptr 1
		.amdhsa_user_sgpr_dispatch_id 0
		.amdhsa_user_sgpr_kernarg_preload_length 0
		.amdhsa_user_sgpr_kernarg_preload_offset 0
		.amdhsa_user_sgpr_private_segment_size 0
		.amdhsa_uses_dynamic_stack 0
		.amdhsa_enable_private_segment 0
		.amdhsa_system_sgpr_workgroup_id_x 1
		.amdhsa_system_sgpr_workgroup_id_y 0
		.amdhsa_system_sgpr_workgroup_id_z 0
		.amdhsa_system_sgpr_workgroup_info 0
		.amdhsa_system_vgpr_workitem_id 0
		.amdhsa_next_free_vgpr 156
		.amdhsa_next_free_sgpr 42
		.amdhsa_accum_offset 156
		.amdhsa_reserve_vcc 1
		.amdhsa_float_round_mode_32 0
		.amdhsa_float_round_mode_16_64 0
		.amdhsa_float_denorm_mode_32 3
		.amdhsa_float_denorm_mode_16_64 3
		.amdhsa_dx10_clamp 1
		.amdhsa_ieee_mode 1
		.amdhsa_fp16_overflow 0
		.amdhsa_tg_split 0
		.amdhsa_exception_fp_ieee_invalid_op 0
		.amdhsa_exception_fp_denorm_src 0
		.amdhsa_exception_fp_ieee_div_zero 0
		.amdhsa_exception_fp_ieee_overflow 0
		.amdhsa_exception_fp_ieee_underflow 0
		.amdhsa_exception_fp_ieee_inexact 0
		.amdhsa_exception_int_div_zero 0
	.end_amdhsa_kernel
	.text
.Lfunc_end0:
	.size	fft_rtc_back_len1188_factors_6_11_2_3_3_wgs_198_tpt_66_halfLds_dp_op_CI_CI_sbrr_dirReg, .Lfunc_end0-fft_rtc_back_len1188_factors_6_11_2_3_3_wgs_198_tpt_66_halfLds_dp_op_CI_CI_sbrr_dirReg
                                        ; -- End function
	.section	.AMDGPU.csdata,"",@progbits
; Kernel info:
; codeLenInByte = 15552
; NumSgprs: 48
; NumVgprs: 156
; NumAgprs: 0
; TotalNumVgprs: 156
; ScratchSize: 0
; MemoryBound: 1
; FloatMode: 240
; IeeeMode: 1
; LDSByteSize: 0 bytes/workgroup (compile time only)
; SGPRBlocks: 5
; VGPRBlocks: 19
; NumSGPRsForWavesPerEU: 48
; NumVGPRsForWavesPerEU: 156
; AccumOffset: 156
; Occupancy: 3
; WaveLimiterHint : 1
; COMPUTE_PGM_RSRC2:SCRATCH_EN: 0
; COMPUTE_PGM_RSRC2:USER_SGPR: 2
; COMPUTE_PGM_RSRC2:TRAP_HANDLER: 0
; COMPUTE_PGM_RSRC2:TGID_X_EN: 1
; COMPUTE_PGM_RSRC2:TGID_Y_EN: 0
; COMPUTE_PGM_RSRC2:TGID_Z_EN: 0
; COMPUTE_PGM_RSRC2:TIDIG_COMP_CNT: 0
; COMPUTE_PGM_RSRC3_GFX90A:ACCUM_OFFSET: 38
; COMPUTE_PGM_RSRC3_GFX90A:TG_SPLIT: 0
	.text
	.p2alignl 6, 3212836864
	.fill 256, 4, 3212836864
	.type	__hip_cuid_4b7530f2b4fc3282,@object ; @__hip_cuid_4b7530f2b4fc3282
	.section	.bss,"aw",@nobits
	.globl	__hip_cuid_4b7530f2b4fc3282
__hip_cuid_4b7530f2b4fc3282:
	.byte	0                               ; 0x0
	.size	__hip_cuid_4b7530f2b4fc3282, 1

	.ident	"AMD clang version 19.0.0git (https://github.com/RadeonOpenCompute/llvm-project roc-6.4.0 25133 c7fe45cf4b819c5991fe208aaa96edf142730f1d)"
	.section	".note.GNU-stack","",@progbits
	.addrsig
	.addrsig_sym __hip_cuid_4b7530f2b4fc3282
	.amdgpu_metadata
---
amdhsa.kernels:
  - .agpr_count:     0
    .args:
      - .actual_access:  read_only
        .address_space:  global
        .offset:         0
        .size:           8
        .value_kind:     global_buffer
      - .offset:         8
        .size:           8
        .value_kind:     by_value
      - .actual_access:  read_only
        .address_space:  global
        .offset:         16
        .size:           8
        .value_kind:     global_buffer
      - .actual_access:  read_only
        .address_space:  global
        .offset:         24
        .size:           8
        .value_kind:     global_buffer
      - .actual_access:  read_only
        .address_space:  global
        .offset:         32
        .size:           8
        .value_kind:     global_buffer
      - .offset:         40
        .size:           8
        .value_kind:     by_value
      - .actual_access:  read_only
        .address_space:  global
        .offset:         48
        .size:           8
        .value_kind:     global_buffer
      - .actual_access:  read_only
        .address_space:  global
        .offset:         56
        .size:           8
        .value_kind:     global_buffer
      - .offset:         64
        .size:           4
        .value_kind:     by_value
      - .actual_access:  read_only
        .address_space:  global
        .offset:         72
        .size:           8
        .value_kind:     global_buffer
      - .actual_access:  read_only
        .address_space:  global
        .offset:         80
        .size:           8
        .value_kind:     global_buffer
      - .actual_access:  read_only
        .address_space:  global
        .offset:         88
        .size:           8
        .value_kind:     global_buffer
      - .actual_access:  write_only
        .address_space:  global
        .offset:         96
        .size:           8
        .value_kind:     global_buffer
    .group_segment_fixed_size: 0
    .kernarg_segment_align: 8
    .kernarg_segment_size: 104
    .language:       OpenCL C
    .language_version:
      - 2
      - 0
    .max_flat_workgroup_size: 198
    .name:           fft_rtc_back_len1188_factors_6_11_2_3_3_wgs_198_tpt_66_halfLds_dp_op_CI_CI_sbrr_dirReg
    .private_segment_fixed_size: 0
    .sgpr_count:     48
    .sgpr_spill_count: 0
    .symbol:         fft_rtc_back_len1188_factors_6_11_2_3_3_wgs_198_tpt_66_halfLds_dp_op_CI_CI_sbrr_dirReg.kd
    .uniform_work_group_size: 1
    .uses_dynamic_stack: false
    .vgpr_count:     156
    .vgpr_spill_count: 0
    .wavefront_size: 64
amdhsa.target:   amdgcn-amd-amdhsa--gfx950
amdhsa.version:
  - 1
  - 2
...

	.end_amdgpu_metadata
